;; amdgpu-corpus repo=ROCm/composable_kernel kind=compiled arch=gfx1201 opt=O3
	.amdgcn_target "amdgcn-amd-amdhsa--gfx1201"
	.amdhsa_code_object_version 6
	.section	.text._ZN2ckL12flush_icacheEv,"axG",@progbits,_ZN2ckL12flush_icacheEv,comdat
	.globl	_ZN2ckL12flush_icacheEv         ; -- Begin function _ZN2ckL12flush_icacheEv
	.p2align	8
	.type	_ZN2ckL12flush_icacheEv,@function
_ZN2ckL12flush_icacheEv:                ; @_ZN2ckL12flush_icacheEv
; %bb.0:
	;;#ASMSTART
	s_icache_inv 
	s_nop 0 
	s_nop 0 
	;; [unrolled: 1-line block ×16, first 2 shown]
	
	;;#ASMEND
	s_endpgm
	.section	.rodata,"a",@progbits
	.p2align	6, 0x0
	.amdhsa_kernel _ZN2ckL12flush_icacheEv
		.amdhsa_group_segment_fixed_size 0
		.amdhsa_private_segment_fixed_size 0
		.amdhsa_kernarg_size 0
		.amdhsa_user_sgpr_count 0
		.amdhsa_user_sgpr_dispatch_ptr 0
		.amdhsa_user_sgpr_queue_ptr 0
		.amdhsa_user_sgpr_kernarg_segment_ptr 0
		.amdhsa_user_sgpr_dispatch_id 0
		.amdhsa_user_sgpr_private_segment_size 0
		.amdhsa_wavefront_size32 1
		.amdhsa_uses_dynamic_stack 0
		.amdhsa_enable_private_segment 0
		.amdhsa_system_sgpr_workgroup_id_x 1
		.amdhsa_system_sgpr_workgroup_id_y 0
		.amdhsa_system_sgpr_workgroup_id_z 0
		.amdhsa_system_sgpr_workgroup_info 0
		.amdhsa_system_vgpr_workitem_id 0
		.amdhsa_next_free_vgpr 1
		.amdhsa_next_free_sgpr 1
		.amdhsa_reserve_vcc 0
		.amdhsa_float_round_mode_32 0
		.amdhsa_float_round_mode_16_64 0
		.amdhsa_float_denorm_mode_32 3
		.amdhsa_float_denorm_mode_16_64 3
		.amdhsa_fp16_overflow 0
		.amdhsa_workgroup_processor_mode 1
		.amdhsa_memory_ordered 1
		.amdhsa_forward_progress 1
		.amdhsa_inst_pref_size 1
		.amdhsa_round_robin_scheduling 0
		.amdhsa_exception_fp_ieee_invalid_op 0
		.amdhsa_exception_fp_denorm_src 0
		.amdhsa_exception_fp_ieee_div_zero 0
		.amdhsa_exception_fp_ieee_overflow 0
		.amdhsa_exception_fp_ieee_underflow 0
		.amdhsa_exception_fp_ieee_inexact 0
		.amdhsa_exception_int_div_zero 0
	.end_amdhsa_kernel
	.section	.text._ZN2ckL12flush_icacheEv,"axG",@progbits,_ZN2ckL12flush_icacheEv,comdat
.Lfunc_end0:
	.size	_ZN2ckL12flush_icacheEv, .Lfunc_end0-_ZN2ckL12flush_icacheEv
                                        ; -- End function
	.set _ZN2ckL12flush_icacheEv.num_vgpr, 0
	.set _ZN2ckL12flush_icacheEv.num_agpr, 0
	.set _ZN2ckL12flush_icacheEv.numbered_sgpr, 0
	.set _ZN2ckL12flush_icacheEv.num_named_barrier, 0
	.set _ZN2ckL12flush_icacheEv.private_seg_size, 0
	.set _ZN2ckL12flush_icacheEv.uses_vcc, 0
	.set _ZN2ckL12flush_icacheEv.uses_flat_scratch, 0
	.set _ZN2ckL12flush_icacheEv.has_dyn_sized_stack, 0
	.set _ZN2ckL12flush_icacheEv.has_recursion, 0
	.set _ZN2ckL12flush_icacheEv.has_indirect_call, 0
	.section	.AMDGPU.csdata,"",@progbits
; Kernel info:
; codeLenInByte = 4
; TotalNumSgprs: 0
; NumVgprs: 0
; ScratchSize: 0
; MemoryBound: 0
; FloatMode: 240
; IeeeMode: 1
; LDSByteSize: 0 bytes/workgroup (compile time only)
; SGPRBlocks: 0
; VGPRBlocks: 0
; NumSGPRsForWavesPerEU: 1
; NumVGPRsForWavesPerEU: 1
; Occupancy: 16
; WaveLimiterHint : 0
; COMPUTE_PGM_RSRC2:SCRATCH_EN: 0
; COMPUTE_PGM_RSRC2:USER_SGPR: 0
; COMPUTE_PGM_RSRC2:TRAP_HANDLER: 0
; COMPUTE_PGM_RSRC2:TGID_X_EN: 1
; COMPUTE_PGM_RSRC2:TGID_Y_EN: 0
; COMPUTE_PGM_RSRC2:TGID_Z_EN: 0
; COMPUTE_PGM_RSRC2:TIDIG_COMP_CNT: 0
	.section	.text._ZN2ck23kernel_gemm_xdlops_v2r3INS_43GridwiseGemm_k0mk1_k0nk1_mn_xdlops_v2r3_extILi256EdddLNS_25InMemoryDataOperationEnumE0ENS_13tensor_layout4gemm8RowMajorENS4_11ColumnMajorES5_NS_16tensor_operation12element_wise11PassThroughES9_S9_LNS7_6device18GemmSpecializationE0ELi128ELi128ELi4ELi16ELi16ELi2ELi4ELi4ENS_8SequenceIJLi4ELi64ELi1EEEENSC_IJLi1ELi0ELi2EEEESE_Li2ELi2ELi2ELb0ELb1ESD_SE_SE_Li2ELi2ELi2ELb0ELb1ENSC_IJLi0ELi2ELi4ELi5ELi6ELi1ELi3ELi7EEEELi7ELi1ELi1ELNS_13LoopSchedulerE0ELNS_15PipelineVersionE0EEELb1EEEvNT_8ArgumentE,"axG",@progbits,_ZN2ck23kernel_gemm_xdlops_v2r3INS_43GridwiseGemm_k0mk1_k0nk1_mn_xdlops_v2r3_extILi256EdddLNS_25InMemoryDataOperationEnumE0ENS_13tensor_layout4gemm8RowMajorENS4_11ColumnMajorES5_NS_16tensor_operation12element_wise11PassThroughES9_S9_LNS7_6device18GemmSpecializationE0ELi128ELi128ELi4ELi16ELi16ELi2ELi4ELi4ENS_8SequenceIJLi4ELi64ELi1EEEENSC_IJLi1ELi0ELi2EEEESE_Li2ELi2ELi2ELb0ELb1ESD_SE_SE_Li2ELi2ELi2ELb0ELb1ENSC_IJLi0ELi2ELi4ELi5ELi6ELi1ELi3ELi7EEEELi7ELi1ELi1ELNS_13LoopSchedulerE0ELNS_15PipelineVersionE0EEELb1EEEvNT_8ArgumentE,comdat
	.protected	_ZN2ck23kernel_gemm_xdlops_v2r3INS_43GridwiseGemm_k0mk1_k0nk1_mn_xdlops_v2r3_extILi256EdddLNS_25InMemoryDataOperationEnumE0ENS_13tensor_layout4gemm8RowMajorENS4_11ColumnMajorES5_NS_16tensor_operation12element_wise11PassThroughES9_S9_LNS7_6device18GemmSpecializationE0ELi128ELi128ELi4ELi16ELi16ELi2ELi4ELi4ENS_8SequenceIJLi4ELi64ELi1EEEENSC_IJLi1ELi0ELi2EEEESE_Li2ELi2ELi2ELb0ELb1ESD_SE_SE_Li2ELi2ELi2ELb0ELb1ENSC_IJLi0ELi2ELi4ELi5ELi6ELi1ELi3ELi7EEEELi7ELi1ELi1ELNS_13LoopSchedulerE0ELNS_15PipelineVersionE0EEELb1EEEvNT_8ArgumentE ; -- Begin function _ZN2ck23kernel_gemm_xdlops_v2r3INS_43GridwiseGemm_k0mk1_k0nk1_mn_xdlops_v2r3_extILi256EdddLNS_25InMemoryDataOperationEnumE0ENS_13tensor_layout4gemm8RowMajorENS4_11ColumnMajorES5_NS_16tensor_operation12element_wise11PassThroughES9_S9_LNS7_6device18GemmSpecializationE0ELi128ELi128ELi4ELi16ELi16ELi2ELi4ELi4ENS_8SequenceIJLi4ELi64ELi1EEEENSC_IJLi1ELi0ELi2EEEESE_Li2ELi2ELi2ELb0ELb1ESD_SE_SE_Li2ELi2ELi2ELb0ELb1ENSC_IJLi0ELi2ELi4ELi5ELi6ELi1ELi3ELi7EEEELi7ELi1ELi1ELNS_13LoopSchedulerE0ELNS_15PipelineVersionE0EEELb1EEEvNT_8ArgumentE
	.globl	_ZN2ck23kernel_gemm_xdlops_v2r3INS_43GridwiseGemm_k0mk1_k0nk1_mn_xdlops_v2r3_extILi256EdddLNS_25InMemoryDataOperationEnumE0ENS_13tensor_layout4gemm8RowMajorENS4_11ColumnMajorES5_NS_16tensor_operation12element_wise11PassThroughES9_S9_LNS7_6device18GemmSpecializationE0ELi128ELi128ELi4ELi16ELi16ELi2ELi4ELi4ENS_8SequenceIJLi4ELi64ELi1EEEENSC_IJLi1ELi0ELi2EEEESE_Li2ELi2ELi2ELb0ELb1ESD_SE_SE_Li2ELi2ELi2ELb0ELb1ENSC_IJLi0ELi2ELi4ELi5ELi6ELi1ELi3ELi7EEEELi7ELi1ELi1ELNS_13LoopSchedulerE0ELNS_15PipelineVersionE0EEELb1EEEvNT_8ArgumentE
	.p2align	8
	.type	_ZN2ck23kernel_gemm_xdlops_v2r3INS_43GridwiseGemm_k0mk1_k0nk1_mn_xdlops_v2r3_extILi256EdddLNS_25InMemoryDataOperationEnumE0ENS_13tensor_layout4gemm8RowMajorENS4_11ColumnMajorES5_NS_16tensor_operation12element_wise11PassThroughES9_S9_LNS7_6device18GemmSpecializationE0ELi128ELi128ELi4ELi16ELi16ELi2ELi4ELi4ENS_8SequenceIJLi4ELi64ELi1EEEENSC_IJLi1ELi0ELi2EEEESE_Li2ELi2ELi2ELb0ELb1ESD_SE_SE_Li2ELi2ELi2ELb0ELb1ENSC_IJLi0ELi2ELi4ELi5ELi6ELi1ELi3ELi7EEEELi7ELi1ELi1ELNS_13LoopSchedulerE0ELNS_15PipelineVersionE0EEELb1EEEvNT_8ArgumentE,@function
_ZN2ck23kernel_gemm_xdlops_v2r3INS_43GridwiseGemm_k0mk1_k0nk1_mn_xdlops_v2r3_extILi256EdddLNS_25InMemoryDataOperationEnumE0ENS_13tensor_layout4gemm8RowMajorENS4_11ColumnMajorES5_NS_16tensor_operation12element_wise11PassThroughES9_S9_LNS7_6device18GemmSpecializationE0ELi128ELi128ELi4ELi16ELi16ELi2ELi4ELi4ENS_8SequenceIJLi4ELi64ELi1EEEENSC_IJLi1ELi0ELi2EEEESE_Li2ELi2ELi2ELb0ELb1ESD_SE_SE_Li2ELi2ELi2ELb0ELb1ENSC_IJLi0ELi2ELi4ELi5ELi6ELi1ELi3ELi7EEEELi7ELi1ELi1ELNS_13LoopSchedulerE0ELNS_15PipelineVersionE0EEELb1EEEvNT_8ArgumentE: ; @_ZN2ck23kernel_gemm_xdlops_v2r3INS_43GridwiseGemm_k0mk1_k0nk1_mn_xdlops_v2r3_extILi256EdddLNS_25InMemoryDataOperationEnumE0ENS_13tensor_layout4gemm8RowMajorENS4_11ColumnMajorES5_NS_16tensor_operation12element_wise11PassThroughES9_S9_LNS7_6device18GemmSpecializationE0ELi128ELi128ELi4ELi16ELi16ELi2ELi4ELi4ENS_8SequenceIJLi4ELi64ELi1EEEENSC_IJLi1ELi0ELi2EEEESE_Li2ELi2ELi2ELb0ELb1ESD_SE_SE_Li2ELi2ELi2ELb0ELb1ENSC_IJLi0ELi2ELi4ELi5ELi6ELi1ELi3ELi7EEEELi7ELi1ELi1ELNS_13LoopSchedulerE0ELNS_15PipelineVersionE0EEELb1EEEvNT_8ArgumentE
; %bb.0:
	s_endpgm
	.section	.rodata,"a",@progbits
	.p2align	6, 0x0
	.amdhsa_kernel _ZN2ck23kernel_gemm_xdlops_v2r3INS_43GridwiseGemm_k0mk1_k0nk1_mn_xdlops_v2r3_extILi256EdddLNS_25InMemoryDataOperationEnumE0ENS_13tensor_layout4gemm8RowMajorENS4_11ColumnMajorES5_NS_16tensor_operation12element_wise11PassThroughES9_S9_LNS7_6device18GemmSpecializationE0ELi128ELi128ELi4ELi16ELi16ELi2ELi4ELi4ENS_8SequenceIJLi4ELi64ELi1EEEENSC_IJLi1ELi0ELi2EEEESE_Li2ELi2ELi2ELb0ELb1ESD_SE_SE_Li2ELi2ELi2ELb0ELb1ENSC_IJLi0ELi2ELi4ELi5ELi6ELi1ELi3ELi7EEEELi7ELi1ELi1ELNS_13LoopSchedulerE0ELNS_15PipelineVersionE0EEELb1EEEvNT_8ArgumentE
		.amdhsa_group_segment_fixed_size 0
		.amdhsa_private_segment_fixed_size 0
		.amdhsa_kernarg_size 80
		.amdhsa_user_sgpr_count 2
		.amdhsa_user_sgpr_dispatch_ptr 0
		.amdhsa_user_sgpr_queue_ptr 0
		.amdhsa_user_sgpr_kernarg_segment_ptr 1
		.amdhsa_user_sgpr_dispatch_id 0
		.amdhsa_user_sgpr_private_segment_size 0
		.amdhsa_wavefront_size32 1
		.amdhsa_uses_dynamic_stack 0
		.amdhsa_enable_private_segment 0
		.amdhsa_system_sgpr_workgroup_id_x 1
		.amdhsa_system_sgpr_workgroup_id_y 0
		.amdhsa_system_sgpr_workgroup_id_z 0
		.amdhsa_system_sgpr_workgroup_info 0
		.amdhsa_system_vgpr_workitem_id 0
		.amdhsa_next_free_vgpr 1
		.amdhsa_next_free_sgpr 1
		.amdhsa_reserve_vcc 0
		.amdhsa_float_round_mode_32 0
		.amdhsa_float_round_mode_16_64 0
		.amdhsa_float_denorm_mode_32 3
		.amdhsa_float_denorm_mode_16_64 3
		.amdhsa_fp16_overflow 0
		.amdhsa_workgroup_processor_mode 1
		.amdhsa_memory_ordered 1
		.amdhsa_forward_progress 1
		.amdhsa_inst_pref_size 1
		.amdhsa_round_robin_scheduling 0
		.amdhsa_exception_fp_ieee_invalid_op 0
		.amdhsa_exception_fp_denorm_src 0
		.amdhsa_exception_fp_ieee_div_zero 0
		.amdhsa_exception_fp_ieee_overflow 0
		.amdhsa_exception_fp_ieee_underflow 0
		.amdhsa_exception_fp_ieee_inexact 0
		.amdhsa_exception_int_div_zero 0
	.end_amdhsa_kernel
	.section	.text._ZN2ck23kernel_gemm_xdlops_v2r3INS_43GridwiseGemm_k0mk1_k0nk1_mn_xdlops_v2r3_extILi256EdddLNS_25InMemoryDataOperationEnumE0ENS_13tensor_layout4gemm8RowMajorENS4_11ColumnMajorES5_NS_16tensor_operation12element_wise11PassThroughES9_S9_LNS7_6device18GemmSpecializationE0ELi128ELi128ELi4ELi16ELi16ELi2ELi4ELi4ENS_8SequenceIJLi4ELi64ELi1EEEENSC_IJLi1ELi0ELi2EEEESE_Li2ELi2ELi2ELb0ELb1ESD_SE_SE_Li2ELi2ELi2ELb0ELb1ENSC_IJLi0ELi2ELi4ELi5ELi6ELi1ELi3ELi7EEEELi7ELi1ELi1ELNS_13LoopSchedulerE0ELNS_15PipelineVersionE0EEELb1EEEvNT_8ArgumentE,"axG",@progbits,_ZN2ck23kernel_gemm_xdlops_v2r3INS_43GridwiseGemm_k0mk1_k0nk1_mn_xdlops_v2r3_extILi256EdddLNS_25InMemoryDataOperationEnumE0ENS_13tensor_layout4gemm8RowMajorENS4_11ColumnMajorES5_NS_16tensor_operation12element_wise11PassThroughES9_S9_LNS7_6device18GemmSpecializationE0ELi128ELi128ELi4ELi16ELi16ELi2ELi4ELi4ENS_8SequenceIJLi4ELi64ELi1EEEENSC_IJLi1ELi0ELi2EEEESE_Li2ELi2ELi2ELb0ELb1ESD_SE_SE_Li2ELi2ELi2ELb0ELb1ENSC_IJLi0ELi2ELi4ELi5ELi6ELi1ELi3ELi7EEEELi7ELi1ELi1ELNS_13LoopSchedulerE0ELNS_15PipelineVersionE0EEELb1EEEvNT_8ArgumentE,comdat
.Lfunc_end1:
	.size	_ZN2ck23kernel_gemm_xdlops_v2r3INS_43GridwiseGemm_k0mk1_k0nk1_mn_xdlops_v2r3_extILi256EdddLNS_25InMemoryDataOperationEnumE0ENS_13tensor_layout4gemm8RowMajorENS4_11ColumnMajorES5_NS_16tensor_operation12element_wise11PassThroughES9_S9_LNS7_6device18GemmSpecializationE0ELi128ELi128ELi4ELi16ELi16ELi2ELi4ELi4ENS_8SequenceIJLi4ELi64ELi1EEEENSC_IJLi1ELi0ELi2EEEESE_Li2ELi2ELi2ELb0ELb1ESD_SE_SE_Li2ELi2ELi2ELb0ELb1ENSC_IJLi0ELi2ELi4ELi5ELi6ELi1ELi3ELi7EEEELi7ELi1ELi1ELNS_13LoopSchedulerE0ELNS_15PipelineVersionE0EEELb1EEEvNT_8ArgumentE, .Lfunc_end1-_ZN2ck23kernel_gemm_xdlops_v2r3INS_43GridwiseGemm_k0mk1_k0nk1_mn_xdlops_v2r3_extILi256EdddLNS_25InMemoryDataOperationEnumE0ENS_13tensor_layout4gemm8RowMajorENS4_11ColumnMajorES5_NS_16tensor_operation12element_wise11PassThroughES9_S9_LNS7_6device18GemmSpecializationE0ELi128ELi128ELi4ELi16ELi16ELi2ELi4ELi4ENS_8SequenceIJLi4ELi64ELi1EEEENSC_IJLi1ELi0ELi2EEEESE_Li2ELi2ELi2ELb0ELb1ESD_SE_SE_Li2ELi2ELi2ELb0ELb1ENSC_IJLi0ELi2ELi4ELi5ELi6ELi1ELi3ELi7EEEELi7ELi1ELi1ELNS_13LoopSchedulerE0ELNS_15PipelineVersionE0EEELb1EEEvNT_8ArgumentE
                                        ; -- End function
	.set _ZN2ck23kernel_gemm_xdlops_v2r3INS_43GridwiseGemm_k0mk1_k0nk1_mn_xdlops_v2r3_extILi256EdddLNS_25InMemoryDataOperationEnumE0ENS_13tensor_layout4gemm8RowMajorENS4_11ColumnMajorES5_NS_16tensor_operation12element_wise11PassThroughES9_S9_LNS7_6device18GemmSpecializationE0ELi128ELi128ELi4ELi16ELi16ELi2ELi4ELi4ENS_8SequenceIJLi4ELi64ELi1EEEENSC_IJLi1ELi0ELi2EEEESE_Li2ELi2ELi2ELb0ELb1ESD_SE_SE_Li2ELi2ELi2ELb0ELb1ENSC_IJLi0ELi2ELi4ELi5ELi6ELi1ELi3ELi7EEEELi7ELi1ELi1ELNS_13LoopSchedulerE0ELNS_15PipelineVersionE0EEELb1EEEvNT_8ArgumentE.num_vgpr, 0
	.set _ZN2ck23kernel_gemm_xdlops_v2r3INS_43GridwiseGemm_k0mk1_k0nk1_mn_xdlops_v2r3_extILi256EdddLNS_25InMemoryDataOperationEnumE0ENS_13tensor_layout4gemm8RowMajorENS4_11ColumnMajorES5_NS_16tensor_operation12element_wise11PassThroughES9_S9_LNS7_6device18GemmSpecializationE0ELi128ELi128ELi4ELi16ELi16ELi2ELi4ELi4ENS_8SequenceIJLi4ELi64ELi1EEEENSC_IJLi1ELi0ELi2EEEESE_Li2ELi2ELi2ELb0ELb1ESD_SE_SE_Li2ELi2ELi2ELb0ELb1ENSC_IJLi0ELi2ELi4ELi5ELi6ELi1ELi3ELi7EEEELi7ELi1ELi1ELNS_13LoopSchedulerE0ELNS_15PipelineVersionE0EEELb1EEEvNT_8ArgumentE.num_agpr, 0
	.set _ZN2ck23kernel_gemm_xdlops_v2r3INS_43GridwiseGemm_k0mk1_k0nk1_mn_xdlops_v2r3_extILi256EdddLNS_25InMemoryDataOperationEnumE0ENS_13tensor_layout4gemm8RowMajorENS4_11ColumnMajorES5_NS_16tensor_operation12element_wise11PassThroughES9_S9_LNS7_6device18GemmSpecializationE0ELi128ELi128ELi4ELi16ELi16ELi2ELi4ELi4ENS_8SequenceIJLi4ELi64ELi1EEEENSC_IJLi1ELi0ELi2EEEESE_Li2ELi2ELi2ELb0ELb1ESD_SE_SE_Li2ELi2ELi2ELb0ELb1ENSC_IJLi0ELi2ELi4ELi5ELi6ELi1ELi3ELi7EEEELi7ELi1ELi1ELNS_13LoopSchedulerE0ELNS_15PipelineVersionE0EEELb1EEEvNT_8ArgumentE.numbered_sgpr, 0
	.set _ZN2ck23kernel_gemm_xdlops_v2r3INS_43GridwiseGemm_k0mk1_k0nk1_mn_xdlops_v2r3_extILi256EdddLNS_25InMemoryDataOperationEnumE0ENS_13tensor_layout4gemm8RowMajorENS4_11ColumnMajorES5_NS_16tensor_operation12element_wise11PassThroughES9_S9_LNS7_6device18GemmSpecializationE0ELi128ELi128ELi4ELi16ELi16ELi2ELi4ELi4ENS_8SequenceIJLi4ELi64ELi1EEEENSC_IJLi1ELi0ELi2EEEESE_Li2ELi2ELi2ELb0ELb1ESD_SE_SE_Li2ELi2ELi2ELb0ELb1ENSC_IJLi0ELi2ELi4ELi5ELi6ELi1ELi3ELi7EEEELi7ELi1ELi1ELNS_13LoopSchedulerE0ELNS_15PipelineVersionE0EEELb1EEEvNT_8ArgumentE.num_named_barrier, 0
	.set _ZN2ck23kernel_gemm_xdlops_v2r3INS_43GridwiseGemm_k0mk1_k0nk1_mn_xdlops_v2r3_extILi256EdddLNS_25InMemoryDataOperationEnumE0ENS_13tensor_layout4gemm8RowMajorENS4_11ColumnMajorES5_NS_16tensor_operation12element_wise11PassThroughES9_S9_LNS7_6device18GemmSpecializationE0ELi128ELi128ELi4ELi16ELi16ELi2ELi4ELi4ENS_8SequenceIJLi4ELi64ELi1EEEENSC_IJLi1ELi0ELi2EEEESE_Li2ELi2ELi2ELb0ELb1ESD_SE_SE_Li2ELi2ELi2ELb0ELb1ENSC_IJLi0ELi2ELi4ELi5ELi6ELi1ELi3ELi7EEEELi7ELi1ELi1ELNS_13LoopSchedulerE0ELNS_15PipelineVersionE0EEELb1EEEvNT_8ArgumentE.private_seg_size, 0
	.set _ZN2ck23kernel_gemm_xdlops_v2r3INS_43GridwiseGemm_k0mk1_k0nk1_mn_xdlops_v2r3_extILi256EdddLNS_25InMemoryDataOperationEnumE0ENS_13tensor_layout4gemm8RowMajorENS4_11ColumnMajorES5_NS_16tensor_operation12element_wise11PassThroughES9_S9_LNS7_6device18GemmSpecializationE0ELi128ELi128ELi4ELi16ELi16ELi2ELi4ELi4ENS_8SequenceIJLi4ELi64ELi1EEEENSC_IJLi1ELi0ELi2EEEESE_Li2ELi2ELi2ELb0ELb1ESD_SE_SE_Li2ELi2ELi2ELb0ELb1ENSC_IJLi0ELi2ELi4ELi5ELi6ELi1ELi3ELi7EEEELi7ELi1ELi1ELNS_13LoopSchedulerE0ELNS_15PipelineVersionE0EEELb1EEEvNT_8ArgumentE.uses_vcc, 0
	.set _ZN2ck23kernel_gemm_xdlops_v2r3INS_43GridwiseGemm_k0mk1_k0nk1_mn_xdlops_v2r3_extILi256EdddLNS_25InMemoryDataOperationEnumE0ENS_13tensor_layout4gemm8RowMajorENS4_11ColumnMajorES5_NS_16tensor_operation12element_wise11PassThroughES9_S9_LNS7_6device18GemmSpecializationE0ELi128ELi128ELi4ELi16ELi16ELi2ELi4ELi4ENS_8SequenceIJLi4ELi64ELi1EEEENSC_IJLi1ELi0ELi2EEEESE_Li2ELi2ELi2ELb0ELb1ESD_SE_SE_Li2ELi2ELi2ELb0ELb1ENSC_IJLi0ELi2ELi4ELi5ELi6ELi1ELi3ELi7EEEELi7ELi1ELi1ELNS_13LoopSchedulerE0ELNS_15PipelineVersionE0EEELb1EEEvNT_8ArgumentE.uses_flat_scratch, 0
	.set _ZN2ck23kernel_gemm_xdlops_v2r3INS_43GridwiseGemm_k0mk1_k0nk1_mn_xdlops_v2r3_extILi256EdddLNS_25InMemoryDataOperationEnumE0ENS_13tensor_layout4gemm8RowMajorENS4_11ColumnMajorES5_NS_16tensor_operation12element_wise11PassThroughES9_S9_LNS7_6device18GemmSpecializationE0ELi128ELi128ELi4ELi16ELi16ELi2ELi4ELi4ENS_8SequenceIJLi4ELi64ELi1EEEENSC_IJLi1ELi0ELi2EEEESE_Li2ELi2ELi2ELb0ELb1ESD_SE_SE_Li2ELi2ELi2ELb0ELb1ENSC_IJLi0ELi2ELi4ELi5ELi6ELi1ELi3ELi7EEEELi7ELi1ELi1ELNS_13LoopSchedulerE0ELNS_15PipelineVersionE0EEELb1EEEvNT_8ArgumentE.has_dyn_sized_stack, 0
	.set _ZN2ck23kernel_gemm_xdlops_v2r3INS_43GridwiseGemm_k0mk1_k0nk1_mn_xdlops_v2r3_extILi256EdddLNS_25InMemoryDataOperationEnumE0ENS_13tensor_layout4gemm8RowMajorENS4_11ColumnMajorES5_NS_16tensor_operation12element_wise11PassThroughES9_S9_LNS7_6device18GemmSpecializationE0ELi128ELi128ELi4ELi16ELi16ELi2ELi4ELi4ENS_8SequenceIJLi4ELi64ELi1EEEENSC_IJLi1ELi0ELi2EEEESE_Li2ELi2ELi2ELb0ELb1ESD_SE_SE_Li2ELi2ELi2ELb0ELb1ENSC_IJLi0ELi2ELi4ELi5ELi6ELi1ELi3ELi7EEEELi7ELi1ELi1ELNS_13LoopSchedulerE0ELNS_15PipelineVersionE0EEELb1EEEvNT_8ArgumentE.has_recursion, 0
	.set _ZN2ck23kernel_gemm_xdlops_v2r3INS_43GridwiseGemm_k0mk1_k0nk1_mn_xdlops_v2r3_extILi256EdddLNS_25InMemoryDataOperationEnumE0ENS_13tensor_layout4gemm8RowMajorENS4_11ColumnMajorES5_NS_16tensor_operation12element_wise11PassThroughES9_S9_LNS7_6device18GemmSpecializationE0ELi128ELi128ELi4ELi16ELi16ELi2ELi4ELi4ENS_8SequenceIJLi4ELi64ELi1EEEENSC_IJLi1ELi0ELi2EEEESE_Li2ELi2ELi2ELb0ELb1ESD_SE_SE_Li2ELi2ELi2ELb0ELb1ENSC_IJLi0ELi2ELi4ELi5ELi6ELi1ELi3ELi7EEEELi7ELi1ELi1ELNS_13LoopSchedulerE0ELNS_15PipelineVersionE0EEELb1EEEvNT_8ArgumentE.has_indirect_call, 0
	.section	.AMDGPU.csdata,"",@progbits
; Kernel info:
; codeLenInByte = 4
; TotalNumSgprs: 0
; NumVgprs: 0
; ScratchSize: 0
; MemoryBound: 0
; FloatMode: 240
; IeeeMode: 1
; LDSByteSize: 0 bytes/workgroup (compile time only)
; SGPRBlocks: 0
; VGPRBlocks: 0
; NumSGPRsForWavesPerEU: 1
; NumVGPRsForWavesPerEU: 1
; Occupancy: 16
; WaveLimiterHint : 0
; COMPUTE_PGM_RSRC2:SCRATCH_EN: 0
; COMPUTE_PGM_RSRC2:USER_SGPR: 2
; COMPUTE_PGM_RSRC2:TRAP_HANDLER: 0
; COMPUTE_PGM_RSRC2:TGID_X_EN: 1
; COMPUTE_PGM_RSRC2:TGID_Y_EN: 0
; COMPUTE_PGM_RSRC2:TGID_Z_EN: 0
; COMPUTE_PGM_RSRC2:TIDIG_COMP_CNT: 0
	.section	.text._ZN2ck23kernel_gemm_xdlops_v2r3INS_43GridwiseGemm_k0mk1_k0nk1_mn_xdlops_v2r3_extILi256EdddLNS_25InMemoryDataOperationEnumE0ENS_13tensor_layout4gemm8RowMajorENS4_11ColumnMajorES5_NS_16tensor_operation12element_wise11PassThroughES9_S9_LNS7_6device18GemmSpecializationE0ELi128ELi128ELi4ELi16ELi16ELi2ELi4ELi4ENS_8SequenceIJLi4ELi64ELi1EEEENSC_IJLi1ELi0ELi2EEEESE_Li2ELi2ELi2ELb0ELb1ESD_SE_SE_Li2ELi2ELi2ELb0ELb1ENSC_IJLi0ELi2ELi4ELi5ELi6ELi1ELi3ELi7EEEELi7ELi1ELi1ELNS_13LoopSchedulerE0ELNS_15PipelineVersionE0EEELb0EEEvNT_8ArgumentE,"axG",@progbits,_ZN2ck23kernel_gemm_xdlops_v2r3INS_43GridwiseGemm_k0mk1_k0nk1_mn_xdlops_v2r3_extILi256EdddLNS_25InMemoryDataOperationEnumE0ENS_13tensor_layout4gemm8RowMajorENS4_11ColumnMajorES5_NS_16tensor_operation12element_wise11PassThroughES9_S9_LNS7_6device18GemmSpecializationE0ELi128ELi128ELi4ELi16ELi16ELi2ELi4ELi4ENS_8SequenceIJLi4ELi64ELi1EEEENSC_IJLi1ELi0ELi2EEEESE_Li2ELi2ELi2ELb0ELb1ESD_SE_SE_Li2ELi2ELi2ELb0ELb1ENSC_IJLi0ELi2ELi4ELi5ELi6ELi1ELi3ELi7EEEELi7ELi1ELi1ELNS_13LoopSchedulerE0ELNS_15PipelineVersionE0EEELb0EEEvNT_8ArgumentE,comdat
	.protected	_ZN2ck23kernel_gemm_xdlops_v2r3INS_43GridwiseGemm_k0mk1_k0nk1_mn_xdlops_v2r3_extILi256EdddLNS_25InMemoryDataOperationEnumE0ENS_13tensor_layout4gemm8RowMajorENS4_11ColumnMajorES5_NS_16tensor_operation12element_wise11PassThroughES9_S9_LNS7_6device18GemmSpecializationE0ELi128ELi128ELi4ELi16ELi16ELi2ELi4ELi4ENS_8SequenceIJLi4ELi64ELi1EEEENSC_IJLi1ELi0ELi2EEEESE_Li2ELi2ELi2ELb0ELb1ESD_SE_SE_Li2ELi2ELi2ELb0ELb1ENSC_IJLi0ELi2ELi4ELi5ELi6ELi1ELi3ELi7EEEELi7ELi1ELi1ELNS_13LoopSchedulerE0ELNS_15PipelineVersionE0EEELb0EEEvNT_8ArgumentE ; -- Begin function _ZN2ck23kernel_gemm_xdlops_v2r3INS_43GridwiseGemm_k0mk1_k0nk1_mn_xdlops_v2r3_extILi256EdddLNS_25InMemoryDataOperationEnumE0ENS_13tensor_layout4gemm8RowMajorENS4_11ColumnMajorES5_NS_16tensor_operation12element_wise11PassThroughES9_S9_LNS7_6device18GemmSpecializationE0ELi128ELi128ELi4ELi16ELi16ELi2ELi4ELi4ENS_8SequenceIJLi4ELi64ELi1EEEENSC_IJLi1ELi0ELi2EEEESE_Li2ELi2ELi2ELb0ELb1ESD_SE_SE_Li2ELi2ELi2ELb0ELb1ENSC_IJLi0ELi2ELi4ELi5ELi6ELi1ELi3ELi7EEEELi7ELi1ELi1ELNS_13LoopSchedulerE0ELNS_15PipelineVersionE0EEELb0EEEvNT_8ArgumentE
	.globl	_ZN2ck23kernel_gemm_xdlops_v2r3INS_43GridwiseGemm_k0mk1_k0nk1_mn_xdlops_v2r3_extILi256EdddLNS_25InMemoryDataOperationEnumE0ENS_13tensor_layout4gemm8RowMajorENS4_11ColumnMajorES5_NS_16tensor_operation12element_wise11PassThroughES9_S9_LNS7_6device18GemmSpecializationE0ELi128ELi128ELi4ELi16ELi16ELi2ELi4ELi4ENS_8SequenceIJLi4ELi64ELi1EEEENSC_IJLi1ELi0ELi2EEEESE_Li2ELi2ELi2ELb0ELb1ESD_SE_SE_Li2ELi2ELi2ELb0ELb1ENSC_IJLi0ELi2ELi4ELi5ELi6ELi1ELi3ELi7EEEELi7ELi1ELi1ELNS_13LoopSchedulerE0ELNS_15PipelineVersionE0EEELb0EEEvNT_8ArgumentE
	.p2align	8
	.type	_ZN2ck23kernel_gemm_xdlops_v2r3INS_43GridwiseGemm_k0mk1_k0nk1_mn_xdlops_v2r3_extILi256EdddLNS_25InMemoryDataOperationEnumE0ENS_13tensor_layout4gemm8RowMajorENS4_11ColumnMajorES5_NS_16tensor_operation12element_wise11PassThroughES9_S9_LNS7_6device18GemmSpecializationE0ELi128ELi128ELi4ELi16ELi16ELi2ELi4ELi4ENS_8SequenceIJLi4ELi64ELi1EEEENSC_IJLi1ELi0ELi2EEEESE_Li2ELi2ELi2ELb0ELb1ESD_SE_SE_Li2ELi2ELi2ELb0ELb1ENSC_IJLi0ELi2ELi4ELi5ELi6ELi1ELi3ELi7EEEELi7ELi1ELi1ELNS_13LoopSchedulerE0ELNS_15PipelineVersionE0EEELb0EEEvNT_8ArgumentE,@function
_ZN2ck23kernel_gemm_xdlops_v2r3INS_43GridwiseGemm_k0mk1_k0nk1_mn_xdlops_v2r3_extILi256EdddLNS_25InMemoryDataOperationEnumE0ENS_13tensor_layout4gemm8RowMajorENS4_11ColumnMajorES5_NS_16tensor_operation12element_wise11PassThroughES9_S9_LNS7_6device18GemmSpecializationE0ELi128ELi128ELi4ELi16ELi16ELi2ELi4ELi4ENS_8SequenceIJLi4ELi64ELi1EEEENSC_IJLi1ELi0ELi2EEEESE_Li2ELi2ELi2ELb0ELb1ESD_SE_SE_Li2ELi2ELi2ELb0ELb1ENSC_IJLi0ELi2ELi4ELi5ELi6ELi1ELi3ELi7EEEELi7ELi1ELi1ELNS_13LoopSchedulerE0ELNS_15PipelineVersionE0EEELb0EEEvNT_8ArgumentE: ; @_ZN2ck23kernel_gemm_xdlops_v2r3INS_43GridwiseGemm_k0mk1_k0nk1_mn_xdlops_v2r3_extILi256EdddLNS_25InMemoryDataOperationEnumE0ENS_13tensor_layout4gemm8RowMajorENS4_11ColumnMajorES5_NS_16tensor_operation12element_wise11PassThroughES9_S9_LNS7_6device18GemmSpecializationE0ELi128ELi128ELi4ELi16ELi16ELi2ELi4ELi4ENS_8SequenceIJLi4ELi64ELi1EEEENSC_IJLi1ELi0ELi2EEEESE_Li2ELi2ELi2ELb0ELb1ESD_SE_SE_Li2ELi2ELi2ELb0ELb1ENSC_IJLi0ELi2ELi4ELi5ELi6ELi1ELi3ELi7EEEELi7ELi1ELi1ELNS_13LoopSchedulerE0ELNS_15PipelineVersionE0EEELb0EEEvNT_8ArgumentE
; %bb.0:
	s_endpgm
	.section	.rodata,"a",@progbits
	.p2align	6, 0x0
	.amdhsa_kernel _ZN2ck23kernel_gemm_xdlops_v2r3INS_43GridwiseGemm_k0mk1_k0nk1_mn_xdlops_v2r3_extILi256EdddLNS_25InMemoryDataOperationEnumE0ENS_13tensor_layout4gemm8RowMajorENS4_11ColumnMajorES5_NS_16tensor_operation12element_wise11PassThroughES9_S9_LNS7_6device18GemmSpecializationE0ELi128ELi128ELi4ELi16ELi16ELi2ELi4ELi4ENS_8SequenceIJLi4ELi64ELi1EEEENSC_IJLi1ELi0ELi2EEEESE_Li2ELi2ELi2ELb0ELb1ESD_SE_SE_Li2ELi2ELi2ELb0ELb1ENSC_IJLi0ELi2ELi4ELi5ELi6ELi1ELi3ELi7EEEELi7ELi1ELi1ELNS_13LoopSchedulerE0ELNS_15PipelineVersionE0EEELb0EEEvNT_8ArgumentE
		.amdhsa_group_segment_fixed_size 0
		.amdhsa_private_segment_fixed_size 0
		.amdhsa_kernarg_size 80
		.amdhsa_user_sgpr_count 2
		.amdhsa_user_sgpr_dispatch_ptr 0
		.amdhsa_user_sgpr_queue_ptr 0
		.amdhsa_user_sgpr_kernarg_segment_ptr 1
		.amdhsa_user_sgpr_dispatch_id 0
		.amdhsa_user_sgpr_private_segment_size 0
		.amdhsa_wavefront_size32 1
		.amdhsa_uses_dynamic_stack 0
		.amdhsa_enable_private_segment 0
		.amdhsa_system_sgpr_workgroup_id_x 1
		.amdhsa_system_sgpr_workgroup_id_y 0
		.amdhsa_system_sgpr_workgroup_id_z 0
		.amdhsa_system_sgpr_workgroup_info 0
		.amdhsa_system_vgpr_workitem_id 0
		.amdhsa_next_free_vgpr 1
		.amdhsa_next_free_sgpr 1
		.amdhsa_reserve_vcc 0
		.amdhsa_float_round_mode_32 0
		.amdhsa_float_round_mode_16_64 0
		.amdhsa_float_denorm_mode_32 3
		.amdhsa_float_denorm_mode_16_64 3
		.amdhsa_fp16_overflow 0
		.amdhsa_workgroup_processor_mode 1
		.amdhsa_memory_ordered 1
		.amdhsa_forward_progress 1
		.amdhsa_inst_pref_size 1
		.amdhsa_round_robin_scheduling 0
		.amdhsa_exception_fp_ieee_invalid_op 0
		.amdhsa_exception_fp_denorm_src 0
		.amdhsa_exception_fp_ieee_div_zero 0
		.amdhsa_exception_fp_ieee_overflow 0
		.amdhsa_exception_fp_ieee_underflow 0
		.amdhsa_exception_fp_ieee_inexact 0
		.amdhsa_exception_int_div_zero 0
	.end_amdhsa_kernel
	.section	.text._ZN2ck23kernel_gemm_xdlops_v2r3INS_43GridwiseGemm_k0mk1_k0nk1_mn_xdlops_v2r3_extILi256EdddLNS_25InMemoryDataOperationEnumE0ENS_13tensor_layout4gemm8RowMajorENS4_11ColumnMajorES5_NS_16tensor_operation12element_wise11PassThroughES9_S9_LNS7_6device18GemmSpecializationE0ELi128ELi128ELi4ELi16ELi16ELi2ELi4ELi4ENS_8SequenceIJLi4ELi64ELi1EEEENSC_IJLi1ELi0ELi2EEEESE_Li2ELi2ELi2ELb0ELb1ESD_SE_SE_Li2ELi2ELi2ELb0ELb1ENSC_IJLi0ELi2ELi4ELi5ELi6ELi1ELi3ELi7EEEELi7ELi1ELi1ELNS_13LoopSchedulerE0ELNS_15PipelineVersionE0EEELb0EEEvNT_8ArgumentE,"axG",@progbits,_ZN2ck23kernel_gemm_xdlops_v2r3INS_43GridwiseGemm_k0mk1_k0nk1_mn_xdlops_v2r3_extILi256EdddLNS_25InMemoryDataOperationEnumE0ENS_13tensor_layout4gemm8RowMajorENS4_11ColumnMajorES5_NS_16tensor_operation12element_wise11PassThroughES9_S9_LNS7_6device18GemmSpecializationE0ELi128ELi128ELi4ELi16ELi16ELi2ELi4ELi4ENS_8SequenceIJLi4ELi64ELi1EEEENSC_IJLi1ELi0ELi2EEEESE_Li2ELi2ELi2ELb0ELb1ESD_SE_SE_Li2ELi2ELi2ELb0ELb1ENSC_IJLi0ELi2ELi4ELi5ELi6ELi1ELi3ELi7EEEELi7ELi1ELi1ELNS_13LoopSchedulerE0ELNS_15PipelineVersionE0EEELb0EEEvNT_8ArgumentE,comdat
.Lfunc_end2:
	.size	_ZN2ck23kernel_gemm_xdlops_v2r3INS_43GridwiseGemm_k0mk1_k0nk1_mn_xdlops_v2r3_extILi256EdddLNS_25InMemoryDataOperationEnumE0ENS_13tensor_layout4gemm8RowMajorENS4_11ColumnMajorES5_NS_16tensor_operation12element_wise11PassThroughES9_S9_LNS7_6device18GemmSpecializationE0ELi128ELi128ELi4ELi16ELi16ELi2ELi4ELi4ENS_8SequenceIJLi4ELi64ELi1EEEENSC_IJLi1ELi0ELi2EEEESE_Li2ELi2ELi2ELb0ELb1ESD_SE_SE_Li2ELi2ELi2ELb0ELb1ENSC_IJLi0ELi2ELi4ELi5ELi6ELi1ELi3ELi7EEEELi7ELi1ELi1ELNS_13LoopSchedulerE0ELNS_15PipelineVersionE0EEELb0EEEvNT_8ArgumentE, .Lfunc_end2-_ZN2ck23kernel_gemm_xdlops_v2r3INS_43GridwiseGemm_k0mk1_k0nk1_mn_xdlops_v2r3_extILi256EdddLNS_25InMemoryDataOperationEnumE0ENS_13tensor_layout4gemm8RowMajorENS4_11ColumnMajorES5_NS_16tensor_operation12element_wise11PassThroughES9_S9_LNS7_6device18GemmSpecializationE0ELi128ELi128ELi4ELi16ELi16ELi2ELi4ELi4ENS_8SequenceIJLi4ELi64ELi1EEEENSC_IJLi1ELi0ELi2EEEESE_Li2ELi2ELi2ELb0ELb1ESD_SE_SE_Li2ELi2ELi2ELb0ELb1ENSC_IJLi0ELi2ELi4ELi5ELi6ELi1ELi3ELi7EEEELi7ELi1ELi1ELNS_13LoopSchedulerE0ELNS_15PipelineVersionE0EEELb0EEEvNT_8ArgumentE
                                        ; -- End function
	.set _ZN2ck23kernel_gemm_xdlops_v2r3INS_43GridwiseGemm_k0mk1_k0nk1_mn_xdlops_v2r3_extILi256EdddLNS_25InMemoryDataOperationEnumE0ENS_13tensor_layout4gemm8RowMajorENS4_11ColumnMajorES5_NS_16tensor_operation12element_wise11PassThroughES9_S9_LNS7_6device18GemmSpecializationE0ELi128ELi128ELi4ELi16ELi16ELi2ELi4ELi4ENS_8SequenceIJLi4ELi64ELi1EEEENSC_IJLi1ELi0ELi2EEEESE_Li2ELi2ELi2ELb0ELb1ESD_SE_SE_Li2ELi2ELi2ELb0ELb1ENSC_IJLi0ELi2ELi4ELi5ELi6ELi1ELi3ELi7EEEELi7ELi1ELi1ELNS_13LoopSchedulerE0ELNS_15PipelineVersionE0EEELb0EEEvNT_8ArgumentE.num_vgpr, 0
	.set _ZN2ck23kernel_gemm_xdlops_v2r3INS_43GridwiseGemm_k0mk1_k0nk1_mn_xdlops_v2r3_extILi256EdddLNS_25InMemoryDataOperationEnumE0ENS_13tensor_layout4gemm8RowMajorENS4_11ColumnMajorES5_NS_16tensor_operation12element_wise11PassThroughES9_S9_LNS7_6device18GemmSpecializationE0ELi128ELi128ELi4ELi16ELi16ELi2ELi4ELi4ENS_8SequenceIJLi4ELi64ELi1EEEENSC_IJLi1ELi0ELi2EEEESE_Li2ELi2ELi2ELb0ELb1ESD_SE_SE_Li2ELi2ELi2ELb0ELb1ENSC_IJLi0ELi2ELi4ELi5ELi6ELi1ELi3ELi7EEEELi7ELi1ELi1ELNS_13LoopSchedulerE0ELNS_15PipelineVersionE0EEELb0EEEvNT_8ArgumentE.num_agpr, 0
	.set _ZN2ck23kernel_gemm_xdlops_v2r3INS_43GridwiseGemm_k0mk1_k0nk1_mn_xdlops_v2r3_extILi256EdddLNS_25InMemoryDataOperationEnumE0ENS_13tensor_layout4gemm8RowMajorENS4_11ColumnMajorES5_NS_16tensor_operation12element_wise11PassThroughES9_S9_LNS7_6device18GemmSpecializationE0ELi128ELi128ELi4ELi16ELi16ELi2ELi4ELi4ENS_8SequenceIJLi4ELi64ELi1EEEENSC_IJLi1ELi0ELi2EEEESE_Li2ELi2ELi2ELb0ELb1ESD_SE_SE_Li2ELi2ELi2ELb0ELb1ENSC_IJLi0ELi2ELi4ELi5ELi6ELi1ELi3ELi7EEEELi7ELi1ELi1ELNS_13LoopSchedulerE0ELNS_15PipelineVersionE0EEELb0EEEvNT_8ArgumentE.numbered_sgpr, 0
	.set _ZN2ck23kernel_gemm_xdlops_v2r3INS_43GridwiseGemm_k0mk1_k0nk1_mn_xdlops_v2r3_extILi256EdddLNS_25InMemoryDataOperationEnumE0ENS_13tensor_layout4gemm8RowMajorENS4_11ColumnMajorES5_NS_16tensor_operation12element_wise11PassThroughES9_S9_LNS7_6device18GemmSpecializationE0ELi128ELi128ELi4ELi16ELi16ELi2ELi4ELi4ENS_8SequenceIJLi4ELi64ELi1EEEENSC_IJLi1ELi0ELi2EEEESE_Li2ELi2ELi2ELb0ELb1ESD_SE_SE_Li2ELi2ELi2ELb0ELb1ENSC_IJLi0ELi2ELi4ELi5ELi6ELi1ELi3ELi7EEEELi7ELi1ELi1ELNS_13LoopSchedulerE0ELNS_15PipelineVersionE0EEELb0EEEvNT_8ArgumentE.num_named_barrier, 0
	.set _ZN2ck23kernel_gemm_xdlops_v2r3INS_43GridwiseGemm_k0mk1_k0nk1_mn_xdlops_v2r3_extILi256EdddLNS_25InMemoryDataOperationEnumE0ENS_13tensor_layout4gemm8RowMajorENS4_11ColumnMajorES5_NS_16tensor_operation12element_wise11PassThroughES9_S9_LNS7_6device18GemmSpecializationE0ELi128ELi128ELi4ELi16ELi16ELi2ELi4ELi4ENS_8SequenceIJLi4ELi64ELi1EEEENSC_IJLi1ELi0ELi2EEEESE_Li2ELi2ELi2ELb0ELb1ESD_SE_SE_Li2ELi2ELi2ELb0ELb1ENSC_IJLi0ELi2ELi4ELi5ELi6ELi1ELi3ELi7EEEELi7ELi1ELi1ELNS_13LoopSchedulerE0ELNS_15PipelineVersionE0EEELb0EEEvNT_8ArgumentE.private_seg_size, 0
	.set _ZN2ck23kernel_gemm_xdlops_v2r3INS_43GridwiseGemm_k0mk1_k0nk1_mn_xdlops_v2r3_extILi256EdddLNS_25InMemoryDataOperationEnumE0ENS_13tensor_layout4gemm8RowMajorENS4_11ColumnMajorES5_NS_16tensor_operation12element_wise11PassThroughES9_S9_LNS7_6device18GemmSpecializationE0ELi128ELi128ELi4ELi16ELi16ELi2ELi4ELi4ENS_8SequenceIJLi4ELi64ELi1EEEENSC_IJLi1ELi0ELi2EEEESE_Li2ELi2ELi2ELb0ELb1ESD_SE_SE_Li2ELi2ELi2ELb0ELb1ENSC_IJLi0ELi2ELi4ELi5ELi6ELi1ELi3ELi7EEEELi7ELi1ELi1ELNS_13LoopSchedulerE0ELNS_15PipelineVersionE0EEELb0EEEvNT_8ArgumentE.uses_vcc, 0
	.set _ZN2ck23kernel_gemm_xdlops_v2r3INS_43GridwiseGemm_k0mk1_k0nk1_mn_xdlops_v2r3_extILi256EdddLNS_25InMemoryDataOperationEnumE0ENS_13tensor_layout4gemm8RowMajorENS4_11ColumnMajorES5_NS_16tensor_operation12element_wise11PassThroughES9_S9_LNS7_6device18GemmSpecializationE0ELi128ELi128ELi4ELi16ELi16ELi2ELi4ELi4ENS_8SequenceIJLi4ELi64ELi1EEEENSC_IJLi1ELi0ELi2EEEESE_Li2ELi2ELi2ELb0ELb1ESD_SE_SE_Li2ELi2ELi2ELb0ELb1ENSC_IJLi0ELi2ELi4ELi5ELi6ELi1ELi3ELi7EEEELi7ELi1ELi1ELNS_13LoopSchedulerE0ELNS_15PipelineVersionE0EEELb0EEEvNT_8ArgumentE.uses_flat_scratch, 0
	.set _ZN2ck23kernel_gemm_xdlops_v2r3INS_43GridwiseGemm_k0mk1_k0nk1_mn_xdlops_v2r3_extILi256EdddLNS_25InMemoryDataOperationEnumE0ENS_13tensor_layout4gemm8RowMajorENS4_11ColumnMajorES5_NS_16tensor_operation12element_wise11PassThroughES9_S9_LNS7_6device18GemmSpecializationE0ELi128ELi128ELi4ELi16ELi16ELi2ELi4ELi4ENS_8SequenceIJLi4ELi64ELi1EEEENSC_IJLi1ELi0ELi2EEEESE_Li2ELi2ELi2ELb0ELb1ESD_SE_SE_Li2ELi2ELi2ELb0ELb1ENSC_IJLi0ELi2ELi4ELi5ELi6ELi1ELi3ELi7EEEELi7ELi1ELi1ELNS_13LoopSchedulerE0ELNS_15PipelineVersionE0EEELb0EEEvNT_8ArgumentE.has_dyn_sized_stack, 0
	.set _ZN2ck23kernel_gemm_xdlops_v2r3INS_43GridwiseGemm_k0mk1_k0nk1_mn_xdlops_v2r3_extILi256EdddLNS_25InMemoryDataOperationEnumE0ENS_13tensor_layout4gemm8RowMajorENS4_11ColumnMajorES5_NS_16tensor_operation12element_wise11PassThroughES9_S9_LNS7_6device18GemmSpecializationE0ELi128ELi128ELi4ELi16ELi16ELi2ELi4ELi4ENS_8SequenceIJLi4ELi64ELi1EEEENSC_IJLi1ELi0ELi2EEEESE_Li2ELi2ELi2ELb0ELb1ESD_SE_SE_Li2ELi2ELi2ELb0ELb1ENSC_IJLi0ELi2ELi4ELi5ELi6ELi1ELi3ELi7EEEELi7ELi1ELi1ELNS_13LoopSchedulerE0ELNS_15PipelineVersionE0EEELb0EEEvNT_8ArgumentE.has_recursion, 0
	.set _ZN2ck23kernel_gemm_xdlops_v2r3INS_43GridwiseGemm_k0mk1_k0nk1_mn_xdlops_v2r3_extILi256EdddLNS_25InMemoryDataOperationEnumE0ENS_13tensor_layout4gemm8RowMajorENS4_11ColumnMajorES5_NS_16tensor_operation12element_wise11PassThroughES9_S9_LNS7_6device18GemmSpecializationE0ELi128ELi128ELi4ELi16ELi16ELi2ELi4ELi4ENS_8SequenceIJLi4ELi64ELi1EEEENSC_IJLi1ELi0ELi2EEEESE_Li2ELi2ELi2ELb0ELb1ESD_SE_SE_Li2ELi2ELi2ELb0ELb1ENSC_IJLi0ELi2ELi4ELi5ELi6ELi1ELi3ELi7EEEELi7ELi1ELi1ELNS_13LoopSchedulerE0ELNS_15PipelineVersionE0EEELb0EEEvNT_8ArgumentE.has_indirect_call, 0
	.section	.AMDGPU.csdata,"",@progbits
; Kernel info:
; codeLenInByte = 4
; TotalNumSgprs: 0
; NumVgprs: 0
; ScratchSize: 0
; MemoryBound: 0
; FloatMode: 240
; IeeeMode: 1
; LDSByteSize: 0 bytes/workgroup (compile time only)
; SGPRBlocks: 0
; VGPRBlocks: 0
; NumSGPRsForWavesPerEU: 1
; NumVGPRsForWavesPerEU: 1
; Occupancy: 16
; WaveLimiterHint : 0
; COMPUTE_PGM_RSRC2:SCRATCH_EN: 0
; COMPUTE_PGM_RSRC2:USER_SGPR: 2
; COMPUTE_PGM_RSRC2:TRAP_HANDLER: 0
; COMPUTE_PGM_RSRC2:TGID_X_EN: 1
; COMPUTE_PGM_RSRC2:TGID_Y_EN: 0
; COMPUTE_PGM_RSRC2:TGID_Z_EN: 0
; COMPUTE_PGM_RSRC2:TIDIG_COMP_CNT: 0
	.section	.text._ZN2ck23kernel_gemm_xdlops_v2r3INS_43GridwiseGemm_k0mk1_k0nk1_mn_xdlops_v2r3_extILi256EdddLNS_25InMemoryDataOperationEnumE0ENS_13tensor_layout4gemm8RowMajorENS4_11ColumnMajorES5_NS_16tensor_operation12element_wise11PassThroughES9_S9_LNS7_6device18GemmSpecializationE0ELi128ELi128ELi4ELi16ELi16ELi2ELi4ELi2ENS_8SequenceIJLi4ELi64ELi1EEEENSC_IJLi1ELi0ELi2EEEESE_Li2ELi2ELi2ELb0ELb1ESD_SE_SE_Li2ELi2ELi2ELb0ELb1ENSC_IJLi0ELi2ELi4ELi5ELi6ELi1ELi3ELi7EEEELi7ELi1ELi1ELNS_13LoopSchedulerE0ELNS_15PipelineVersionE0EEELb1EEEvNT_8ArgumentE,"axG",@progbits,_ZN2ck23kernel_gemm_xdlops_v2r3INS_43GridwiseGemm_k0mk1_k0nk1_mn_xdlops_v2r3_extILi256EdddLNS_25InMemoryDataOperationEnumE0ENS_13tensor_layout4gemm8RowMajorENS4_11ColumnMajorES5_NS_16tensor_operation12element_wise11PassThroughES9_S9_LNS7_6device18GemmSpecializationE0ELi128ELi128ELi4ELi16ELi16ELi2ELi4ELi2ENS_8SequenceIJLi4ELi64ELi1EEEENSC_IJLi1ELi0ELi2EEEESE_Li2ELi2ELi2ELb0ELb1ESD_SE_SE_Li2ELi2ELi2ELb0ELb1ENSC_IJLi0ELi2ELi4ELi5ELi6ELi1ELi3ELi7EEEELi7ELi1ELi1ELNS_13LoopSchedulerE0ELNS_15PipelineVersionE0EEELb1EEEvNT_8ArgumentE,comdat
	.protected	_ZN2ck23kernel_gemm_xdlops_v2r3INS_43GridwiseGemm_k0mk1_k0nk1_mn_xdlops_v2r3_extILi256EdddLNS_25InMemoryDataOperationEnumE0ENS_13tensor_layout4gemm8RowMajorENS4_11ColumnMajorES5_NS_16tensor_operation12element_wise11PassThroughES9_S9_LNS7_6device18GemmSpecializationE0ELi128ELi128ELi4ELi16ELi16ELi2ELi4ELi2ENS_8SequenceIJLi4ELi64ELi1EEEENSC_IJLi1ELi0ELi2EEEESE_Li2ELi2ELi2ELb0ELb1ESD_SE_SE_Li2ELi2ELi2ELb0ELb1ENSC_IJLi0ELi2ELi4ELi5ELi6ELi1ELi3ELi7EEEELi7ELi1ELi1ELNS_13LoopSchedulerE0ELNS_15PipelineVersionE0EEELb1EEEvNT_8ArgumentE ; -- Begin function _ZN2ck23kernel_gemm_xdlops_v2r3INS_43GridwiseGemm_k0mk1_k0nk1_mn_xdlops_v2r3_extILi256EdddLNS_25InMemoryDataOperationEnumE0ENS_13tensor_layout4gemm8RowMajorENS4_11ColumnMajorES5_NS_16tensor_operation12element_wise11PassThroughES9_S9_LNS7_6device18GemmSpecializationE0ELi128ELi128ELi4ELi16ELi16ELi2ELi4ELi2ENS_8SequenceIJLi4ELi64ELi1EEEENSC_IJLi1ELi0ELi2EEEESE_Li2ELi2ELi2ELb0ELb1ESD_SE_SE_Li2ELi2ELi2ELb0ELb1ENSC_IJLi0ELi2ELi4ELi5ELi6ELi1ELi3ELi7EEEELi7ELi1ELi1ELNS_13LoopSchedulerE0ELNS_15PipelineVersionE0EEELb1EEEvNT_8ArgumentE
	.globl	_ZN2ck23kernel_gemm_xdlops_v2r3INS_43GridwiseGemm_k0mk1_k0nk1_mn_xdlops_v2r3_extILi256EdddLNS_25InMemoryDataOperationEnumE0ENS_13tensor_layout4gemm8RowMajorENS4_11ColumnMajorES5_NS_16tensor_operation12element_wise11PassThroughES9_S9_LNS7_6device18GemmSpecializationE0ELi128ELi128ELi4ELi16ELi16ELi2ELi4ELi2ENS_8SequenceIJLi4ELi64ELi1EEEENSC_IJLi1ELi0ELi2EEEESE_Li2ELi2ELi2ELb0ELb1ESD_SE_SE_Li2ELi2ELi2ELb0ELb1ENSC_IJLi0ELi2ELi4ELi5ELi6ELi1ELi3ELi7EEEELi7ELi1ELi1ELNS_13LoopSchedulerE0ELNS_15PipelineVersionE0EEELb1EEEvNT_8ArgumentE
	.p2align	8
	.type	_ZN2ck23kernel_gemm_xdlops_v2r3INS_43GridwiseGemm_k0mk1_k0nk1_mn_xdlops_v2r3_extILi256EdddLNS_25InMemoryDataOperationEnumE0ENS_13tensor_layout4gemm8RowMajorENS4_11ColumnMajorES5_NS_16tensor_operation12element_wise11PassThroughES9_S9_LNS7_6device18GemmSpecializationE0ELi128ELi128ELi4ELi16ELi16ELi2ELi4ELi2ENS_8SequenceIJLi4ELi64ELi1EEEENSC_IJLi1ELi0ELi2EEEESE_Li2ELi2ELi2ELb0ELb1ESD_SE_SE_Li2ELi2ELi2ELb0ELb1ENSC_IJLi0ELi2ELi4ELi5ELi6ELi1ELi3ELi7EEEELi7ELi1ELi1ELNS_13LoopSchedulerE0ELNS_15PipelineVersionE0EEELb1EEEvNT_8ArgumentE,@function
_ZN2ck23kernel_gemm_xdlops_v2r3INS_43GridwiseGemm_k0mk1_k0nk1_mn_xdlops_v2r3_extILi256EdddLNS_25InMemoryDataOperationEnumE0ENS_13tensor_layout4gemm8RowMajorENS4_11ColumnMajorES5_NS_16tensor_operation12element_wise11PassThroughES9_S9_LNS7_6device18GemmSpecializationE0ELi128ELi128ELi4ELi16ELi16ELi2ELi4ELi2ENS_8SequenceIJLi4ELi64ELi1EEEENSC_IJLi1ELi0ELi2EEEESE_Li2ELi2ELi2ELb0ELb1ESD_SE_SE_Li2ELi2ELi2ELb0ELb1ENSC_IJLi0ELi2ELi4ELi5ELi6ELi1ELi3ELi7EEEELi7ELi1ELi1ELNS_13LoopSchedulerE0ELNS_15PipelineVersionE0EEELb1EEEvNT_8ArgumentE: ; @_ZN2ck23kernel_gemm_xdlops_v2r3INS_43GridwiseGemm_k0mk1_k0nk1_mn_xdlops_v2r3_extILi256EdddLNS_25InMemoryDataOperationEnumE0ENS_13tensor_layout4gemm8RowMajorENS4_11ColumnMajorES5_NS_16tensor_operation12element_wise11PassThroughES9_S9_LNS7_6device18GemmSpecializationE0ELi128ELi128ELi4ELi16ELi16ELi2ELi4ELi2ENS_8SequenceIJLi4ELi64ELi1EEEENSC_IJLi1ELi0ELi2EEEESE_Li2ELi2ELi2ELb0ELb1ESD_SE_SE_Li2ELi2ELi2ELb0ELb1ENSC_IJLi0ELi2ELi4ELi5ELi6ELi1ELi3ELi7EEEELi7ELi1ELi1ELNS_13LoopSchedulerE0ELNS_15PipelineVersionE0EEELb1EEEvNT_8ArgumentE
; %bb.0:
	s_clause 0x1
	s_load_b128 s[4:7], s[0:1], 0x10
	s_load_b64 s[20:21], s[0:1], 0x20
	s_abs_i32 s19, ttmp9
	s_ashr_i32 s18, ttmp9, 31
	v_and_b32_e32 v2, 3, v0
	s_delay_alu instid0(VALU_DEP_1)
	v_lshlrev_b32_e32 v5, 1, v2
	v_mul_u32_u24_e32 v2, 0x102, v2
	s_wait_kmcnt 0x0
	s_add_co_i32 s2, s4, 0x7f
	s_add_co_i32 s3, s5, 0x7f
	s_ashr_i32 s8, s2, 31
	s_ashr_i32 s9, s3, 31
	s_lshr_b32 s8, s8, 25
	s_lshr_b32 s9, s9, 25
	s_add_co_i32 s2, s2, s8
	s_add_co_i32 s3, s3, s9
	s_ashr_i32 s2, s2, 7
	s_ashr_i32 s14, s3, 7
	s_add_co_i32 s23, s4, -1
	s_mul_i32 s3, s14, s2
	s_mov_b32 s9, 0
	s_abs_i32 s15, s3
	s_mov_b32 s22, s9
	s_cvt_f32_u32 s3, s15
	s_sub_co_i32 s4, 0, s15
	s_mov_b32 s8, s7
	s_mov_b32 s10, s9
	v_rcp_iflag_f32_e32 v1, s3
	s_add_co_i32 s11, s5, -1
	s_mul_u64 s[12:13], s[22:23], s[8:9]
	s_mov_b32 s8, s20
	s_ashr_i32 s25, s13, 31
	s_mov_b32 s24, s13
	s_delay_alu instid0(TRANS32_DEP_1) | instskip(SKIP_2) | instid1(SALU_CYCLE_2)
	v_readfirstlane_b32 s3, v1
	s_mul_f32 s3, s3, 0x4f7ffffe
	s_wait_alu 0xfffe
	s_cvt_u32_f32 s16, s3
	s_ashr_i32 s3, s6, 31
	s_delay_alu instid0(SALU_CYCLE_2) | instskip(NEXT) | instid1(SALU_CYCLE_1)
	s_mul_i32 s4, s4, s16
	s_mul_hi_u32 s4, s16, s4
	s_delay_alu instid0(SALU_CYCLE_1) | instskip(NEXT) | instid1(SALU_CYCLE_1)
	s_add_co_i32 s16, s16, s4
	s_mul_hi_u32 s4, s19, s16
	s_mul_u64 s[16:17], s[10:11], s[8:9]
	s_mul_i32 s4, s4, s15
	s_ashr_i32 s27, s17, 31
	s_sub_co_i32 s4, s19, s4
	s_mov_b32 s26, s17
	s_sub_co_i32 s8, s4, s15
	s_cmp_ge_u32 s4, s15
	s_cselect_b32 s4, s8, s4
	s_delay_alu instid0(SALU_CYCLE_1)
	s_sub_co_i32 s8, s4, s15
	s_cmp_ge_u32 s4, s15
	s_cselect_b32 s4, s8, s4
	s_abs_i32 s8, s14
	s_xor_b32 s4, s4, s18
	s_cvt_f32_u32 s9, s8
	s_sub_co_i32 s10, 0, s8
	s_sub_co_i32 s4, s4, s18
	s_delay_alu instid0(SALU_CYCLE_1) | instskip(SKIP_1) | instid1(TRANS32_DEP_1)
	v_rcp_iflag_f32_e32 v1, s9
	s_abs_i32 s11, s4
	v_readfirstlane_b32 s9, v1
	s_mul_f32 s9, s9, 0x4f7ffffe
	s_wait_alu 0xfffe
	s_delay_alu instid0(SALU_CYCLE_2) | instskip(SKIP_1) | instid1(SALU_CYCLE_2)
	s_cvt_u32_f32 s9, s9
	s_wait_alu 0xfffe
	s_mul_i32 s10, s10, s9
	s_delay_alu instid0(SALU_CYCLE_1) | instskip(NEXT) | instid1(SALU_CYCLE_1)
	s_mul_hi_u32 s10, s9, s10
	s_add_co_i32 s9, s9, s10
	s_xor_b32 s10, s4, s14
	s_wait_alu 0xfffe
	s_mul_hi_u32 s9, s11, s9
	s_ashr_i32 s10, s10, 31
	s_wait_alu 0xfffe
	s_mul_i32 s12, s9, s8
	s_delay_alu instid0(SALU_CYCLE_1)
	s_sub_co_i32 s11, s11, s12
	s_add_co_i32 s12, s9, 1
	s_sub_co_i32 s15, s11, s8
	s_cmp_ge_u32 s11, s8
	s_cselect_b32 s9, s12, s9
	s_cselect_b32 s11, s15, s11
	s_wait_alu 0xfffe
	s_add_co_i32 s12, s9, 1
	s_cmp_ge_u32 s11, s8
	s_cselect_b32 s8, s12, s9
	s_lshr_b32 s9, s2, 29
	s_wait_alu 0xfffe
	s_xor_b32 s8, s8, s10
	s_add_co_i32 s9, s2, s9
	s_wait_alu 0xfffe
	s_sub_co_i32 s8, s8, s10
	s_and_b32 s9, s9, -8
	s_wait_alu 0xfffe
	s_mul_i32 s11, s8, s14
	s_sub_co_i32 s2, s2, s9
	s_cmp_ge_i32 s8, s9
	s_wait_alu 0xfffe
	s_cselect_b32 s2, s2, 8
	s_ashr_i32 s10, s8, 31
	s_wait_alu 0xfffe
	s_abs_i32 s12, s2
	s_lshr_b32 s10, s10, 29
	s_cvt_f32_u32 s9, s12
	s_add_co_i32 s10, s8, s10
	s_sub_co_i32 s4, s4, s11
	s_and_b32 s28, s10, -8
	s_wait_alu 0xfffe
	v_rcp_iflag_f32_e32 v1, s9
	s_sub_co_i32 s8, s8, s28
	s_sub_co_i32 s10, 0, s12
	s_wait_alu 0xfffe
	s_mul_i32 s8, s8, s14
	s_wait_alu 0xfffe
	s_add_co_i32 s14, s8, s4
	s_delay_alu instid0(SALU_CYCLE_1) | instskip(NEXT) | instid1(TRANS32_DEP_1)
	s_abs_i32 s8, s14
	v_readfirstlane_b32 s9, v1
	v_lshrrev_b32_e32 v1, 1, v0
	s_mul_f32 s9, s9, 0x4f7ffffe
	s_delay_alu instid0(VALU_DEP_1) | instskip(SKIP_1) | instid1(SALU_CYCLE_1)
	v_and_b32_e32 v3, 0x7e, v1
	s_wait_alu 0xfffe
	s_cvt_u32_f32 s9, s9
	s_wait_alu 0xfffe
	s_delay_alu instid0(SALU_CYCLE_2) | instskip(NEXT) | instid1(SALU_CYCLE_1)
	s_mul_i32 s10, s10, s9
	s_mul_hi_u32 s4, s9, s10
	s_delay_alu instid0(SALU_CYCLE_1)
	s_add_co_i32 s9, s9, s4
	s_wait_alu 0xfffe
	s_mul_hi_u32 s4, s8, s9
	s_xor_b32 s9, s14, s2
	s_mul_i32 s10, s4, s12
	s_wait_alu 0xfffe
	s_ashr_i32 s15, s9, 31
	s_sub_co_i32 s16, s8, s10
	s_add_co_i32 s18, s4, 1
	s_sub_co_i32 s19, s16, s12
	s_cmp_ge_u32 s16, s12
	s_load_b128 s[8:11], s[0:1], 0x38
	s_cselect_b32 s4, s18, s4
	s_cselect_b32 s16, s19, s16
	s_add_co_i32 s18, s4, 1
	s_cmp_ge_u32 s16, s12
	s_cselect_b32 s4, s18, s4
	s_delay_alu instid0(SALU_CYCLE_1) | instskip(NEXT) | instid1(SALU_CYCLE_1)
	s_xor_b32 s4, s4, s15
	s_sub_co_i32 s4, s4, s15
	s_mov_b32 s15, 0x31004000
	s_mul_i32 s2, s4, s2
	v_lshl_or_b32 v6, s4, 7, v3
	s_wait_alu 0xfffe
	s_sub_co_i32 s2, s14, s2
	s_mov_b32 s19, s15
	s_wait_alu 0xfffe
	s_add_co_i32 s28, s28, s2
	s_mov_b32 s2, s6
	v_lshl_or_b32 v4, s28, 7, v3
	v_mul_lo_u32 v6, v6, s20
	s_wait_alu 0xfffe
	s_add_nc_u64 s[24:25], s[24:25], s[2:3]
	s_add_nc_u64 s[2:3], s[26:27], s[2:3]
	s_wait_kmcnt 0x0
	s_mov_b32 s12, s8
	v_mul_lo_u32 v4, v4, s7
	s_lshl_b32 s14, s24, 3
	s_and_b32 s13, s9, 0xffff
	s_wait_alu 0xfffe
	s_lshl_b32 s2, s2, 3
	v_add_nc_u32_e32 v8, v6, v5
	s_mov_b32 s16, s10
	s_and_b32 s17, s11, 0xffff
	s_wait_alu 0xfffe
	s_mov_b32 s18, s2
	v_add_nc_u32_e32 v7, v4, v5
	v_lshlrev_b32_e32 v24, 3, v8
	v_add_lshl_u32 v19, v8, s20, 3
	s_getpc_b64 s[24:25]
	s_sext_i32_i16 s25, s25
	s_add_co_u32 s24, s24, _ZN2ck51BlockwiseGemmXdlops_k0mk1_k0nk1_m0n0m1n1m2m3m4n2_v1ILi256EdddKNS_16TensorDescriptorINS_5TupleIJNS_5EmbedINS2_IJNS_17integral_constantIiLi4EEENS4_IiLi128EEENS4_IiLi2EEEEEENS2_IJNS4_IiLi258EEES7_NS4_IiLi1EEEEEELb0EEEEEENS2_IJNS_8SequenceIJLi0EEEEEEENS2_IJNSE_IJLi1ELi2ELi3EEEEEEESH_NS4_IlLl1030EEEEESL_Li16ELi16ELi4ELi2ELi2EddE6MWavesE@rel32@lo+8
	s_add_co_ci_u32 s25, s25, _ZN2ck51BlockwiseGemmXdlops_k0mk1_k0nk1_m0n0m1n1m2m3m4n2_v1ILi256EdddKNS_16TensorDescriptorINS_5TupleIJNS_5EmbedINS2_IJNS_17integral_constantIiLi4EEENS4_IiLi128EEENS4_IiLi2EEEEEENS2_IJNS4_IiLi258EEES7_NS4_IiLi1EEEEEELb0EEEEEENS2_IJNS_8SequenceIJLi0EEEEEEENS2_IJNSE_IJLi1ELi2ELi3EEEEEEESH_NS4_IlLl1030EEEEESL_Li16ELi16ELi4ELi2ELi2EddE6MWavesE@rel32@hi+16
	s_getpc_b64 s[26:27]
	s_sext_i32_i16 s27, s27
	s_add_co_u32 s26, s26, _ZN2ck51BlockwiseGemmXdlops_k0mk1_k0nk1_m0n0m1n1m2m3m4n2_v1ILi256EdddKNS_16TensorDescriptorINS_5TupleIJNS_5EmbedINS2_IJNS_17integral_constantIiLi4EEENS4_IiLi128EEENS4_IiLi2EEEEEENS2_IJNS4_IiLi258EEES7_NS4_IiLi1EEEEEELb0EEEEEENS2_IJNS_8SequenceIJLi0EEEEEEENS2_IJNSE_IJLi1ELi2ELi3EEEEEEESH_NS4_IlLl1030EEEEESL_Li16ELi16ELi4ELi2ELi2EddE6NWavesE@rel32@lo+8
	s_add_co_ci_u32 s27, s27, _ZN2ck51BlockwiseGemmXdlops_k0mk1_k0nk1_m0n0m1n1m2m3m4n2_v1ILi256EdddKNS_16TensorDescriptorINS_5TupleIJNS_5EmbedINS2_IJNS_17integral_constantIiLi4EEENS4_IiLi128EEENS4_IiLi2EEEEEENS2_IJNS4_IiLi258EEES7_NS4_IiLi1EEEEEELb0EEEEEENS2_IJNS_8SequenceIJLi0EEEEEEENS2_IJNSE_IJLi1ELi2ELi3EEEEEEESH_NS4_IlLl1030EEEEESL_Li16ELi16ELi4ELi2ELi2EddE6NWavesE@rel32@hi+16
	v_lshlrev_b32_e32 v23, 3, v7
	v_add_lshl_u32 v11, v7, s7, 3
	s_clause 0x1
	buffer_load_b128 v[7:10], v23, s[12:15], null offen
	buffer_load_b128 v[11:14], v11, s[12:15], null offen
	s_clause 0x1
	buffer_load_b128 v[15:18], v24, s[16:19], null offen
	buffer_load_b128 v[19:22], v19, s[16:19], null offen
	s_clause 0x1
	s_load_b32 s16, s[0:1], 0x30
	s_load_b64 s[18:19], s[0:1], 0x48
	s_load_b32 s12, s[24:25], 0x0
	s_load_b32 s6, s[26:27], 0x0
	v_lshlrev_b32_e32 v3, 1, v3
	s_mov_b32 s0, s10
	s_mov_b32 s9, s13
	;; [unrolled: 1-line block ×4, first 2 shown]
	v_add_lshl_u32 v2, v3, v2, 3
	v_add3_u32 v3, v6, s20, v5
	v_add3_u32 v5, v4, s7, v5
	v_add_nc_u32_e32 v4, 64, v24
	v_add_nc_u32_e32 v6, 64, v23
	s_wait_loadcnt 0x3
	ds_store_b128 v2, v[7:10]
	s_wait_loadcnt 0x2
	ds_store_b128 v2, v[11:14] offset:16
	s_wait_loadcnt 0x1
	ds_store_b128 v2, v[15:18] offset:8240
	;; [unrolled: 2-line block ×3, first 2 shown]
	s_wait_kmcnt 0x0
	s_ashr_i32 s1, s16, 31
	v_lshl_add_u32 v3, v3, 3, 64
	s_lshr_b32 s1, s1, 30
	v_lshl_add_u32 v5, v5, 3, 64
	s_add_co_i32 s16, s16, s1
	s_mov_b32 s1, s17
	s_ashr_i32 s10, s16, 2
	s_delay_alu instid0(SALU_CYCLE_1)
	s_max_i32 s13, s10, 2
	s_mov_b32 s10, s14
	s_add_co_i32 s7, s13, -1
.LBB3_1:                                ; =>This Inner Loop Header: Depth=1
	s_clause 0x1
	buffer_load_b128 v[7:10], v6, s[8:11], null offen
	buffer_load_b128 v[11:14], v5, s[8:11], null offen
	s_wait_dscnt 0x0
	s_barrier_signal -1
	s_barrier_wait -1
	s_clause 0x1
	buffer_load_b128 v[15:18], v4, s[0:3], null offen
	buffer_load_b128 v[19:22], v3, s[0:3], null offen
	v_add_nc_u32_e32 v4, 64, v4
	v_add_nc_u32_e32 v3, 64, v3
	;; [unrolled: 1-line block ×4, first 2 shown]
	s_add_co_i32 s7, s7, -1
	s_wait_dscnt 0x0
	s_wait_alu 0xfffe
	s_cmp_lg_u32 s7, 0
	s_barrier_signal -1
	s_barrier_wait -1
	s_wait_loadcnt 0x3
	ds_store_b128 v2, v[7:10]
	s_wait_loadcnt 0x2
	ds_store_b128 v2, v[11:14] offset:16
	s_wait_loadcnt 0x1
	ds_store_b128 v2, v[15:18] offset:8240
	;; [unrolled: 2-line block ×3, first 2 shown]
	s_cbranch_scc1 .LBB3_1
; %bb.2:
	v_lshrrev_b32_e32 v2, 7, v0
	s_mov_b32 s9, 0
	s_mov_b32 s8, s21
	s_lshl_b32 s0, s28, 2
	s_wait_alu 0xfffe
	s_mul_u64 s[10:11], s[22:23], s[8:9]
	s_mov_b32 s8, s9
	v_lshlrev_b32_e32 v3, 6, v2
	v_and_b32_e32 v4, 8, v1
	v_lshlrev_b32_e32 v2, 4, v2
	s_lshl_b32 s2, s12, 4
	s_and_b32 s0, s0, 0x7fffffc
	v_sub_nc_u32_e32 v3, v1, v3
	s_wait_alu 0xfffe
	s_mul_i32 s0, s0, s2
	v_and_b32_e32 v0, 15, v0
	v_or3_b32 v2, v2, v4, s0
	s_ashr_i32 s7, s5, 31
	v_lshl_add_u32 v3, s4, 7, v3
	s_lshl_b32 s4, s6, 4
	v_and_or_b32 v0, v1, 48, v0
	v_mul_lo_u32 v2, v2, s21
	s_mov_b32 s6, s5
	v_lshrrev_b32_e32 v3, 6, v3
	s_ashr_i32 s13, s11, 31
	s_mov_b32 s12, s11
	s_and_b32 s1, s19, 0xffff
	s_wait_alu 0xfffe
	s_add_nc_u64 s[6:7], s[12:13], s[6:7]
	v_mul_lo_u32 v3, v3, s4
	s_mov_b32 s3, 0x31004000
	s_mov_b32 s0, s18
	s_mul_i32 s5, s2, s21
	s_wait_alu 0xfffe
	s_lshl_b32 s2, s6, 3
	s_wait_dscnt 0x0
	s_barrier_signal -1
	s_barrier_wait -1
	v_add3_u32 v2, v0, v3, v2
	v_dual_mov_b32 v0, s8 :: v_dual_mov_b32 v1, s9
	s_delay_alu instid0(VALU_DEP_2) | instskip(SKIP_2) | instid1(VALU_DEP_3)
	v_add_nc_u32_e32 v3, s4, v2
	v_lshlrev_b32_e32 v4, 3, v2
	v_add_nc_u32_e32 v2, s21, v2
	v_add_nc_u32_e32 v5, s21, v3
	buffer_store_b64 v[0:1], v4, s[0:3], null offen
	v_lshlrev_b32_e32 v3, 3, v3
	v_lshlrev_b32_e32 v6, 3, v2
	v_add_lshl_u32 v2, v2, s21, 3
	v_add_nc_u32_e32 v4, s21, v5
	v_lshlrev_b32_e32 v5, 3, v5
	s_clause 0x2
	buffer_store_b64 v[0:1], v3, s[0:3], null offen
	buffer_store_b64 v[0:1], v5, s[0:3], null offen
	;; [unrolled: 1-line block ×3, first 2 shown]
	v_add_nc_u32_e32 v7, s21, v4
	v_lshlrev_b32_e32 v3, 3, v4
	s_clause 0x1
	buffer_store_b64 v[0:1], v2, s[0:3], null offen
	buffer_store_b64 v[0:1], v3, s[0:3], null offen
	v_add_nc_u32_e32 v4, s21, v7
	v_subrev_nc_u32_e32 v5, s4, v7
	v_lshlrev_b32_e32 v6, 3, v7
	s_delay_alu instid0(VALU_DEP_3) | instskip(NEXT) | instid1(VALU_DEP_3)
	v_add_nc_u32_e32 v2, s21, v4
	v_lshlrev_b32_e32 v3, 3, v5
	buffer_store_b64 v[0:1], v6, s[0:3], null offen
	v_add_lshl_u32 v5, v5, s21, 3
	v_lshlrev_b32_e32 v4, 3, v4
	v_add_nc_u32_e32 v6, s21, v2
	buffer_store_b64 v[0:1], v3, s[0:3], null offen
	v_lshlrev_b32_e32 v3, 3, v2
	v_subrev_nc_u32_e32 v2, s4, v2
	buffer_store_b64 v[0:1], v5, s[0:3], null offen
	v_add_nc_u32_e32 v5, s5, v6
	s_clause 0x1
	buffer_store_b64 v[0:1], v4, s[0:3], null offen
	buffer_store_b64 v[0:1], v3, s[0:3], null offen
	v_lshlrev_b32_e32 v7, 3, v6
	v_lshlrev_b32_e32 v3, 3, v2
	v_add_lshl_u32 v2, v2, s21, 3
	v_subrev_nc_u32_e32 v4, s4, v5
	v_add_nc_u32_e32 v6, s21, v6
	s_clause 0x2
	buffer_store_b64 v[0:1], v3, s[0:3], null offen
	buffer_store_b64 v[0:1], v2, s[0:3], null offen
	;; [unrolled: 1-line block ×3, first 2 shown]
	v_subrev_nc_u32_e32 v2, s21, v4
	v_lshlrev_b32_e32 v3, 3, v6
	v_subrev_nc_u32_e32 v7, s4, v6
	v_add_nc_u32_e32 v6, s5, v6
	v_lshlrev_b32_e32 v9, 3, v5
	v_add_nc_u32_e32 v8, s4, v2
	buffer_store_b64 v[0:1], v3, s[0:3], null offen
	v_lshlrev_b32_e32 v3, 3, v7
	v_add_lshl_u32 v7, v7, s5, 3
	v_lshlrev_b32_e32 v11, 3, v6
	v_subrev_nc_u32_e32 v10, s21, v8
	v_lshlrev_b32_e32 v4, 3, v4
	s_clause 0x3
	buffer_store_b64 v[0:1], v3, s[0:3], null offen
	buffer_store_b64 v[0:1], v7, s[0:3], null offen
	;; [unrolled: 1-line block ×4, first 2 shown]
	v_subrev_nc_u32_e32 v3, s4, v10
	v_lshlrev_b32_e32 v11, 3, v2
	v_lshlrev_b32_e32 v12, 3, v8
	buffer_store_b64 v[0:1], v4, s[0:3], null offen
	v_add_nc_u32_e32 v6, s5, v6
	v_subrev_nc_u32_e32 v9, s21, v3
	s_clause 0x1
	buffer_store_b64 v[0:1], v11, s[0:3], null offen
	buffer_store_b64 v[0:1], v12, s[0:3], null offen
	v_lshlrev_b32_e32 v11, 3, v10
	v_lshlrev_b32_e32 v3, 3, v3
	v_add_nc_u32_e32 v13, s4, v9
	v_lshlrev_b32_e32 v15, 3, v9
	v_add_nc_u32_e32 v7, s5, v6
	s_clause 0x1
	buffer_store_b64 v[0:1], v11, s[0:3], null offen
	buffer_store_b64 v[0:1], v3, s[0:3], null offen
	v_subrev_nc_u32_e32 v12, s21, v13
	v_add_nc_u32_e32 v3, s5, v9
	v_lshlrev_b32_e32 v9, 3, v13
	buffer_store_b64 v[0:1], v15, s[0:3], null offen
	v_subrev_nc_u32_e32 v4, s21, v7
	v_subrev_nc_u32_e32 v16, s4, v12
	v_add_lshl_u32 v13, v13, s5, 3
	buffer_store_b64 v[0:1], v9, s[0:3], null offen
	v_lshlrev_b32_e32 v9, 3, v12
	v_subrev_nc_u32_e32 v14, s4, v4
	v_subrev_nc_u32_e32 v15, s21, v16
	v_lshlrev_b32_e32 v16, 3, v16
	v_lshlrev_b32_e32 v17, 3, v3
	buffer_store_b64 v[0:1], v9, s[0:3], null offen
	v_subrev_nc_u32_e32 v11, s21, v14
	v_add_nc_u32_e32 v18, s4, v15
	v_lshlrev_b32_e32 v19, 3, v15
	buffer_store_b64 v[0:1], v16, s[0:3], null offen
	v_add_nc_u32_e32 v15, s5, v15
	v_add_lshl_u32 v12, v12, s5, 3
	v_subrev_nc_u32_e32 v9, s21, v18
	buffer_store_b64 v[0:1], v19, s[0:3], null offen
	v_lshlrev_b32_e32 v16, 3, v18
	v_add_lshl_u32 v18, v18, s5, 3
	v_lshlrev_b32_e32 v20, 3, v15
	v_subrev_nc_u32_e32 v19, s4, v9
	v_lshlrev_b32_e32 v21, 3, v9
	v_add_lshl_u32 v9, v9, s5, 3
	v_add_lshl_u32 v15, v15, s21, 3
	;; [unrolled: 1-line block ×3, first 2 shown]
	v_lshlrev_b32_e32 v22, 3, v19
	v_add_lshl_u32 v19, v19, s5, 3
	s_clause 0xa
	buffer_store_b64 v[0:1], v16, s[0:3], null offen
	buffer_store_b64 v[0:1], v21, s[0:3], null offen
	;; [unrolled: 1-line block ×11, first 2 shown]
	v_add_nc_u32_e32 v9, s4, v11
	v_add_lshl_u32 v10, v10, s5, 3
	v_add_lshl_u32 v8, v8, s5, 3
	v_add_nc_u32_e32 v2, s5, v2
	s_clause 0x2
	buffer_store_b64 v[0:1], v3, s[0:3], null offen
	buffer_store_b64 v[0:1], v10, s[0:3], null offen
	;; [unrolled: 1-line block ×3, first 2 shown]
	v_subrev_nc_u32_e32 v12, s21, v9
	v_add_lshl_u32 v5, v5, s5, 3
	v_lshlrev_b32_e32 v13, 3, v2
	v_add_lshl_u32 v2, v2, s21, 3
	v_lshlrev_b32_e32 v8, 3, v6
	v_subrev_nc_u32_e32 v3, s4, v12
	v_subrev_nc_u32_e32 v6, s4, v6
	s_clause 0x3
	buffer_store_b64 v[0:1], v13, s[0:3], null offen
	buffer_store_b64 v[0:1], v2, s[0:3], null offen
	;; [unrolled: 1-line block ×4, first 2 shown]
	v_lshlrev_b32_e32 v7, 3, v7
	v_subrev_nc_u32_e32 v10, s21, v3
	v_lshlrev_b32_e32 v5, 3, v6
	v_add_lshl_u32 v6, v6, s5, 3
	v_lshlrev_b32_e32 v4, 3, v4
	s_clause 0x3
	buffer_store_b64 v[0:1], v5, s[0:3], null offen
	buffer_store_b64 v[0:1], v6, s[0:3], null offen
	buffer_store_b64 v[0:1], v7, s[0:3], null offen
	buffer_store_b64 v[0:1], v4, s[0:3], null offen
	v_add_nc_u32_e32 v2, s4, v10
	v_lshlrev_b32_e32 v5, 3, v14
	v_lshlrev_b32_e32 v6, 3, v11
	;; [unrolled: 1-line block ×4, first 2 shown]
	v_subrev_nc_u32_e32 v8, s21, v2
	s_clause 0x3
	buffer_store_b64 v[0:1], v5, s[0:3], null offen
	buffer_store_b64 v[0:1], v6, s[0:3], null offen
	;; [unrolled: 1-line block ×4, first 2 shown]
	v_lshlrev_b32_e32 v3, 3, v3
	v_lshlrev_b32_e32 v6, 3, v10
	;; [unrolled: 1-line block ×3, first 2 shown]
	v_subrev_nc_u32_e32 v4, s4, v8
	v_lshlrev_b32_e32 v7, 3, v8
	s_clause 0x3
	buffer_store_b64 v[0:1], v3, s[0:3], null offen
	buffer_store_b64 v[0:1], v6, s[0:3], null offen
	;; [unrolled: 1-line block ×4, first 2 shown]
	v_subrev_nc_u32_e32 v11, s21, v4
	v_lshlrev_b32_e32 v3, 3, v4
	s_delay_alu instid0(VALU_DEP_2) | instskip(SKIP_1) | instid1(VALU_DEP_2)
	v_add_nc_u32_e32 v5, s4, v11
	v_lshlrev_b32_e32 v4, 3, v11
	v_subrev_nc_u32_e32 v8, s21, v5
	v_lshlrev_b32_e32 v5, 3, v5
	s_delay_alu instid0(VALU_DEP_2) | instskip(SKIP_1) | instid1(VALU_DEP_2)
	v_subrev_nc_u32_e32 v2, s4, v8
	v_lshlrev_b32_e32 v6, 3, v8
	v_lshlrev_b32_e32 v2, 3, v2
	s_clause 0x4
	buffer_store_b64 v[0:1], v3, s[0:3], null offen
	buffer_store_b64 v[0:1], v4, s[0:3], null offen
	;; [unrolled: 1-line block ×5, first 2 shown]
	s_endpgm
	.section	.rodata,"a",@progbits
	.p2align	6, 0x0
	.amdhsa_kernel _ZN2ck23kernel_gemm_xdlops_v2r3INS_43GridwiseGemm_k0mk1_k0nk1_mn_xdlops_v2r3_extILi256EdddLNS_25InMemoryDataOperationEnumE0ENS_13tensor_layout4gemm8RowMajorENS4_11ColumnMajorES5_NS_16tensor_operation12element_wise11PassThroughES9_S9_LNS7_6device18GemmSpecializationE0ELi128ELi128ELi4ELi16ELi16ELi2ELi4ELi2ENS_8SequenceIJLi4ELi64ELi1EEEENSC_IJLi1ELi0ELi2EEEESE_Li2ELi2ELi2ELb0ELb1ESD_SE_SE_Li2ELi2ELi2ELb0ELb1ENSC_IJLi0ELi2ELi4ELi5ELi6ELi1ELi3ELi7EEEELi7ELi1ELi1ELNS_13LoopSchedulerE0ELNS_15PipelineVersionE0EEELb1EEEvNT_8ArgumentE
		.amdhsa_group_segment_fixed_size 16480
		.amdhsa_private_segment_fixed_size 0
		.amdhsa_kernarg_size 80
		.amdhsa_user_sgpr_count 2
		.amdhsa_user_sgpr_dispatch_ptr 0
		.amdhsa_user_sgpr_queue_ptr 0
		.amdhsa_user_sgpr_kernarg_segment_ptr 1
		.amdhsa_user_sgpr_dispatch_id 0
		.amdhsa_user_sgpr_private_segment_size 0
		.amdhsa_wavefront_size32 1
		.amdhsa_uses_dynamic_stack 0
		.amdhsa_enable_private_segment 0
		.amdhsa_system_sgpr_workgroup_id_x 1
		.amdhsa_system_sgpr_workgroup_id_y 0
		.amdhsa_system_sgpr_workgroup_id_z 0
		.amdhsa_system_sgpr_workgroup_info 0
		.amdhsa_system_vgpr_workitem_id 0
		.amdhsa_next_free_vgpr 25
		.amdhsa_next_free_sgpr 29
		.amdhsa_reserve_vcc 0
		.amdhsa_float_round_mode_32 0
		.amdhsa_float_round_mode_16_64 0
		.amdhsa_float_denorm_mode_32 3
		.amdhsa_float_denorm_mode_16_64 3
		.amdhsa_fp16_overflow 0
		.amdhsa_workgroup_processor_mode 1
		.amdhsa_memory_ordered 1
		.amdhsa_forward_progress 1
		.amdhsa_inst_pref_size 23
		.amdhsa_round_robin_scheduling 0
		.amdhsa_exception_fp_ieee_invalid_op 0
		.amdhsa_exception_fp_denorm_src 0
		.amdhsa_exception_fp_ieee_div_zero 0
		.amdhsa_exception_fp_ieee_overflow 0
		.amdhsa_exception_fp_ieee_underflow 0
		.amdhsa_exception_fp_ieee_inexact 0
		.amdhsa_exception_int_div_zero 0
	.end_amdhsa_kernel
	.section	.text._ZN2ck23kernel_gemm_xdlops_v2r3INS_43GridwiseGemm_k0mk1_k0nk1_mn_xdlops_v2r3_extILi256EdddLNS_25InMemoryDataOperationEnumE0ENS_13tensor_layout4gemm8RowMajorENS4_11ColumnMajorES5_NS_16tensor_operation12element_wise11PassThroughES9_S9_LNS7_6device18GemmSpecializationE0ELi128ELi128ELi4ELi16ELi16ELi2ELi4ELi2ENS_8SequenceIJLi4ELi64ELi1EEEENSC_IJLi1ELi0ELi2EEEESE_Li2ELi2ELi2ELb0ELb1ESD_SE_SE_Li2ELi2ELi2ELb0ELb1ENSC_IJLi0ELi2ELi4ELi5ELi6ELi1ELi3ELi7EEEELi7ELi1ELi1ELNS_13LoopSchedulerE0ELNS_15PipelineVersionE0EEELb1EEEvNT_8ArgumentE,"axG",@progbits,_ZN2ck23kernel_gemm_xdlops_v2r3INS_43GridwiseGemm_k0mk1_k0nk1_mn_xdlops_v2r3_extILi256EdddLNS_25InMemoryDataOperationEnumE0ENS_13tensor_layout4gemm8RowMajorENS4_11ColumnMajorES5_NS_16tensor_operation12element_wise11PassThroughES9_S9_LNS7_6device18GemmSpecializationE0ELi128ELi128ELi4ELi16ELi16ELi2ELi4ELi2ENS_8SequenceIJLi4ELi64ELi1EEEENSC_IJLi1ELi0ELi2EEEESE_Li2ELi2ELi2ELb0ELb1ESD_SE_SE_Li2ELi2ELi2ELb0ELb1ENSC_IJLi0ELi2ELi4ELi5ELi6ELi1ELi3ELi7EEEELi7ELi1ELi1ELNS_13LoopSchedulerE0ELNS_15PipelineVersionE0EEELb1EEEvNT_8ArgumentE,comdat
.Lfunc_end3:
	.size	_ZN2ck23kernel_gemm_xdlops_v2r3INS_43GridwiseGemm_k0mk1_k0nk1_mn_xdlops_v2r3_extILi256EdddLNS_25InMemoryDataOperationEnumE0ENS_13tensor_layout4gemm8RowMajorENS4_11ColumnMajorES5_NS_16tensor_operation12element_wise11PassThroughES9_S9_LNS7_6device18GemmSpecializationE0ELi128ELi128ELi4ELi16ELi16ELi2ELi4ELi2ENS_8SequenceIJLi4ELi64ELi1EEEENSC_IJLi1ELi0ELi2EEEESE_Li2ELi2ELi2ELb0ELb1ESD_SE_SE_Li2ELi2ELi2ELb0ELb1ENSC_IJLi0ELi2ELi4ELi5ELi6ELi1ELi3ELi7EEEELi7ELi1ELi1ELNS_13LoopSchedulerE0ELNS_15PipelineVersionE0EEELb1EEEvNT_8ArgumentE, .Lfunc_end3-_ZN2ck23kernel_gemm_xdlops_v2r3INS_43GridwiseGemm_k0mk1_k0nk1_mn_xdlops_v2r3_extILi256EdddLNS_25InMemoryDataOperationEnumE0ENS_13tensor_layout4gemm8RowMajorENS4_11ColumnMajorES5_NS_16tensor_operation12element_wise11PassThroughES9_S9_LNS7_6device18GemmSpecializationE0ELi128ELi128ELi4ELi16ELi16ELi2ELi4ELi2ENS_8SequenceIJLi4ELi64ELi1EEEENSC_IJLi1ELi0ELi2EEEESE_Li2ELi2ELi2ELb0ELb1ESD_SE_SE_Li2ELi2ELi2ELb0ELb1ENSC_IJLi0ELi2ELi4ELi5ELi6ELi1ELi3ELi7EEEELi7ELi1ELi1ELNS_13LoopSchedulerE0ELNS_15PipelineVersionE0EEELb1EEEvNT_8ArgumentE
                                        ; -- End function
	.set _ZN2ck23kernel_gemm_xdlops_v2r3INS_43GridwiseGemm_k0mk1_k0nk1_mn_xdlops_v2r3_extILi256EdddLNS_25InMemoryDataOperationEnumE0ENS_13tensor_layout4gemm8RowMajorENS4_11ColumnMajorES5_NS_16tensor_operation12element_wise11PassThroughES9_S9_LNS7_6device18GemmSpecializationE0ELi128ELi128ELi4ELi16ELi16ELi2ELi4ELi2ENS_8SequenceIJLi4ELi64ELi1EEEENSC_IJLi1ELi0ELi2EEEESE_Li2ELi2ELi2ELb0ELb1ESD_SE_SE_Li2ELi2ELi2ELb0ELb1ENSC_IJLi0ELi2ELi4ELi5ELi6ELi1ELi3ELi7EEEELi7ELi1ELi1ELNS_13LoopSchedulerE0ELNS_15PipelineVersionE0EEELb1EEEvNT_8ArgumentE.num_vgpr, 25
	.set _ZN2ck23kernel_gemm_xdlops_v2r3INS_43GridwiseGemm_k0mk1_k0nk1_mn_xdlops_v2r3_extILi256EdddLNS_25InMemoryDataOperationEnumE0ENS_13tensor_layout4gemm8RowMajorENS4_11ColumnMajorES5_NS_16tensor_operation12element_wise11PassThroughES9_S9_LNS7_6device18GemmSpecializationE0ELi128ELi128ELi4ELi16ELi16ELi2ELi4ELi2ENS_8SequenceIJLi4ELi64ELi1EEEENSC_IJLi1ELi0ELi2EEEESE_Li2ELi2ELi2ELb0ELb1ESD_SE_SE_Li2ELi2ELi2ELb0ELb1ENSC_IJLi0ELi2ELi4ELi5ELi6ELi1ELi3ELi7EEEELi7ELi1ELi1ELNS_13LoopSchedulerE0ELNS_15PipelineVersionE0EEELb1EEEvNT_8ArgumentE.num_agpr, 0
	.set _ZN2ck23kernel_gemm_xdlops_v2r3INS_43GridwiseGemm_k0mk1_k0nk1_mn_xdlops_v2r3_extILi256EdddLNS_25InMemoryDataOperationEnumE0ENS_13tensor_layout4gemm8RowMajorENS4_11ColumnMajorES5_NS_16tensor_operation12element_wise11PassThroughES9_S9_LNS7_6device18GemmSpecializationE0ELi128ELi128ELi4ELi16ELi16ELi2ELi4ELi2ENS_8SequenceIJLi4ELi64ELi1EEEENSC_IJLi1ELi0ELi2EEEESE_Li2ELi2ELi2ELb0ELb1ESD_SE_SE_Li2ELi2ELi2ELb0ELb1ENSC_IJLi0ELi2ELi4ELi5ELi6ELi1ELi3ELi7EEEELi7ELi1ELi1ELNS_13LoopSchedulerE0ELNS_15PipelineVersionE0EEELb1EEEvNT_8ArgumentE.numbered_sgpr, 29
	.set _ZN2ck23kernel_gemm_xdlops_v2r3INS_43GridwiseGemm_k0mk1_k0nk1_mn_xdlops_v2r3_extILi256EdddLNS_25InMemoryDataOperationEnumE0ENS_13tensor_layout4gemm8RowMajorENS4_11ColumnMajorES5_NS_16tensor_operation12element_wise11PassThroughES9_S9_LNS7_6device18GemmSpecializationE0ELi128ELi128ELi4ELi16ELi16ELi2ELi4ELi2ENS_8SequenceIJLi4ELi64ELi1EEEENSC_IJLi1ELi0ELi2EEEESE_Li2ELi2ELi2ELb0ELb1ESD_SE_SE_Li2ELi2ELi2ELb0ELb1ENSC_IJLi0ELi2ELi4ELi5ELi6ELi1ELi3ELi7EEEELi7ELi1ELi1ELNS_13LoopSchedulerE0ELNS_15PipelineVersionE0EEELb1EEEvNT_8ArgumentE.num_named_barrier, 0
	.set _ZN2ck23kernel_gemm_xdlops_v2r3INS_43GridwiseGemm_k0mk1_k0nk1_mn_xdlops_v2r3_extILi256EdddLNS_25InMemoryDataOperationEnumE0ENS_13tensor_layout4gemm8RowMajorENS4_11ColumnMajorES5_NS_16tensor_operation12element_wise11PassThroughES9_S9_LNS7_6device18GemmSpecializationE0ELi128ELi128ELi4ELi16ELi16ELi2ELi4ELi2ENS_8SequenceIJLi4ELi64ELi1EEEENSC_IJLi1ELi0ELi2EEEESE_Li2ELi2ELi2ELb0ELb1ESD_SE_SE_Li2ELi2ELi2ELb0ELb1ENSC_IJLi0ELi2ELi4ELi5ELi6ELi1ELi3ELi7EEEELi7ELi1ELi1ELNS_13LoopSchedulerE0ELNS_15PipelineVersionE0EEELb1EEEvNT_8ArgumentE.private_seg_size, 0
	.set _ZN2ck23kernel_gemm_xdlops_v2r3INS_43GridwiseGemm_k0mk1_k0nk1_mn_xdlops_v2r3_extILi256EdddLNS_25InMemoryDataOperationEnumE0ENS_13tensor_layout4gemm8RowMajorENS4_11ColumnMajorES5_NS_16tensor_operation12element_wise11PassThroughES9_S9_LNS7_6device18GemmSpecializationE0ELi128ELi128ELi4ELi16ELi16ELi2ELi4ELi2ENS_8SequenceIJLi4ELi64ELi1EEEENSC_IJLi1ELi0ELi2EEEESE_Li2ELi2ELi2ELb0ELb1ESD_SE_SE_Li2ELi2ELi2ELb0ELb1ENSC_IJLi0ELi2ELi4ELi5ELi6ELi1ELi3ELi7EEEELi7ELi1ELi1ELNS_13LoopSchedulerE0ELNS_15PipelineVersionE0EEELb1EEEvNT_8ArgumentE.uses_vcc, 0
	.set _ZN2ck23kernel_gemm_xdlops_v2r3INS_43GridwiseGemm_k0mk1_k0nk1_mn_xdlops_v2r3_extILi256EdddLNS_25InMemoryDataOperationEnumE0ENS_13tensor_layout4gemm8RowMajorENS4_11ColumnMajorES5_NS_16tensor_operation12element_wise11PassThroughES9_S9_LNS7_6device18GemmSpecializationE0ELi128ELi128ELi4ELi16ELi16ELi2ELi4ELi2ENS_8SequenceIJLi4ELi64ELi1EEEENSC_IJLi1ELi0ELi2EEEESE_Li2ELi2ELi2ELb0ELb1ESD_SE_SE_Li2ELi2ELi2ELb0ELb1ENSC_IJLi0ELi2ELi4ELi5ELi6ELi1ELi3ELi7EEEELi7ELi1ELi1ELNS_13LoopSchedulerE0ELNS_15PipelineVersionE0EEELb1EEEvNT_8ArgumentE.uses_flat_scratch, 0
	.set _ZN2ck23kernel_gemm_xdlops_v2r3INS_43GridwiseGemm_k0mk1_k0nk1_mn_xdlops_v2r3_extILi256EdddLNS_25InMemoryDataOperationEnumE0ENS_13tensor_layout4gemm8RowMajorENS4_11ColumnMajorES5_NS_16tensor_operation12element_wise11PassThroughES9_S9_LNS7_6device18GemmSpecializationE0ELi128ELi128ELi4ELi16ELi16ELi2ELi4ELi2ENS_8SequenceIJLi4ELi64ELi1EEEENSC_IJLi1ELi0ELi2EEEESE_Li2ELi2ELi2ELb0ELb1ESD_SE_SE_Li2ELi2ELi2ELb0ELb1ENSC_IJLi0ELi2ELi4ELi5ELi6ELi1ELi3ELi7EEEELi7ELi1ELi1ELNS_13LoopSchedulerE0ELNS_15PipelineVersionE0EEELb1EEEvNT_8ArgumentE.has_dyn_sized_stack, 0
	.set _ZN2ck23kernel_gemm_xdlops_v2r3INS_43GridwiseGemm_k0mk1_k0nk1_mn_xdlops_v2r3_extILi256EdddLNS_25InMemoryDataOperationEnumE0ENS_13tensor_layout4gemm8RowMajorENS4_11ColumnMajorES5_NS_16tensor_operation12element_wise11PassThroughES9_S9_LNS7_6device18GemmSpecializationE0ELi128ELi128ELi4ELi16ELi16ELi2ELi4ELi2ENS_8SequenceIJLi4ELi64ELi1EEEENSC_IJLi1ELi0ELi2EEEESE_Li2ELi2ELi2ELb0ELb1ESD_SE_SE_Li2ELi2ELi2ELb0ELb1ENSC_IJLi0ELi2ELi4ELi5ELi6ELi1ELi3ELi7EEEELi7ELi1ELi1ELNS_13LoopSchedulerE0ELNS_15PipelineVersionE0EEELb1EEEvNT_8ArgumentE.has_recursion, 0
	.set _ZN2ck23kernel_gemm_xdlops_v2r3INS_43GridwiseGemm_k0mk1_k0nk1_mn_xdlops_v2r3_extILi256EdddLNS_25InMemoryDataOperationEnumE0ENS_13tensor_layout4gemm8RowMajorENS4_11ColumnMajorES5_NS_16tensor_operation12element_wise11PassThroughES9_S9_LNS7_6device18GemmSpecializationE0ELi128ELi128ELi4ELi16ELi16ELi2ELi4ELi2ENS_8SequenceIJLi4ELi64ELi1EEEENSC_IJLi1ELi0ELi2EEEESE_Li2ELi2ELi2ELb0ELb1ESD_SE_SE_Li2ELi2ELi2ELb0ELb1ENSC_IJLi0ELi2ELi4ELi5ELi6ELi1ELi3ELi7EEEELi7ELi1ELi1ELNS_13LoopSchedulerE0ELNS_15PipelineVersionE0EEELb1EEEvNT_8ArgumentE.has_indirect_call, 0
	.section	.AMDGPU.csdata,"",@progbits
; Kernel info:
; codeLenInByte = 2836
; TotalNumSgprs: 29
; NumVgprs: 25
; ScratchSize: 0
; MemoryBound: 0
; FloatMode: 240
; IeeeMode: 1
; LDSByteSize: 16480 bytes/workgroup (compile time only)
; SGPRBlocks: 0
; VGPRBlocks: 3
; NumSGPRsForWavesPerEU: 29
; NumVGPRsForWavesPerEU: 25
; Occupancy: 14
; WaveLimiterHint : 0
; COMPUTE_PGM_RSRC2:SCRATCH_EN: 0
; COMPUTE_PGM_RSRC2:USER_SGPR: 2
; COMPUTE_PGM_RSRC2:TRAP_HANDLER: 0
; COMPUTE_PGM_RSRC2:TGID_X_EN: 1
; COMPUTE_PGM_RSRC2:TGID_Y_EN: 0
; COMPUTE_PGM_RSRC2:TGID_Z_EN: 0
; COMPUTE_PGM_RSRC2:TIDIG_COMP_CNT: 0
	.section	.text._ZN2ck23kernel_gemm_xdlops_v2r3INS_43GridwiseGemm_k0mk1_k0nk1_mn_xdlops_v2r3_extILi256EdddLNS_25InMemoryDataOperationEnumE0ENS_13tensor_layout4gemm8RowMajorENS4_11ColumnMajorES5_NS_16tensor_operation12element_wise11PassThroughES9_S9_LNS7_6device18GemmSpecializationE0ELi128ELi128ELi4ELi16ELi16ELi2ELi4ELi2ENS_8SequenceIJLi4ELi64ELi1EEEENSC_IJLi1ELi0ELi2EEEESE_Li2ELi2ELi2ELb0ELb1ESD_SE_SE_Li2ELi2ELi2ELb0ELb1ENSC_IJLi0ELi2ELi4ELi5ELi6ELi1ELi3ELi7EEEELi7ELi1ELi1ELNS_13LoopSchedulerE0ELNS_15PipelineVersionE0EEELb0EEEvNT_8ArgumentE,"axG",@progbits,_ZN2ck23kernel_gemm_xdlops_v2r3INS_43GridwiseGemm_k0mk1_k0nk1_mn_xdlops_v2r3_extILi256EdddLNS_25InMemoryDataOperationEnumE0ENS_13tensor_layout4gemm8RowMajorENS4_11ColumnMajorES5_NS_16tensor_operation12element_wise11PassThroughES9_S9_LNS7_6device18GemmSpecializationE0ELi128ELi128ELi4ELi16ELi16ELi2ELi4ELi2ENS_8SequenceIJLi4ELi64ELi1EEEENSC_IJLi1ELi0ELi2EEEESE_Li2ELi2ELi2ELb0ELb1ESD_SE_SE_Li2ELi2ELi2ELb0ELb1ENSC_IJLi0ELi2ELi4ELi5ELi6ELi1ELi3ELi7EEEELi7ELi1ELi1ELNS_13LoopSchedulerE0ELNS_15PipelineVersionE0EEELb0EEEvNT_8ArgumentE,comdat
	.protected	_ZN2ck23kernel_gemm_xdlops_v2r3INS_43GridwiseGemm_k0mk1_k0nk1_mn_xdlops_v2r3_extILi256EdddLNS_25InMemoryDataOperationEnumE0ENS_13tensor_layout4gemm8RowMajorENS4_11ColumnMajorES5_NS_16tensor_operation12element_wise11PassThroughES9_S9_LNS7_6device18GemmSpecializationE0ELi128ELi128ELi4ELi16ELi16ELi2ELi4ELi2ENS_8SequenceIJLi4ELi64ELi1EEEENSC_IJLi1ELi0ELi2EEEESE_Li2ELi2ELi2ELb0ELb1ESD_SE_SE_Li2ELi2ELi2ELb0ELb1ENSC_IJLi0ELi2ELi4ELi5ELi6ELi1ELi3ELi7EEEELi7ELi1ELi1ELNS_13LoopSchedulerE0ELNS_15PipelineVersionE0EEELb0EEEvNT_8ArgumentE ; -- Begin function _ZN2ck23kernel_gemm_xdlops_v2r3INS_43GridwiseGemm_k0mk1_k0nk1_mn_xdlops_v2r3_extILi256EdddLNS_25InMemoryDataOperationEnumE0ENS_13tensor_layout4gemm8RowMajorENS4_11ColumnMajorES5_NS_16tensor_operation12element_wise11PassThroughES9_S9_LNS7_6device18GemmSpecializationE0ELi128ELi128ELi4ELi16ELi16ELi2ELi4ELi2ENS_8SequenceIJLi4ELi64ELi1EEEENSC_IJLi1ELi0ELi2EEEESE_Li2ELi2ELi2ELb0ELb1ESD_SE_SE_Li2ELi2ELi2ELb0ELb1ENSC_IJLi0ELi2ELi4ELi5ELi6ELi1ELi3ELi7EEEELi7ELi1ELi1ELNS_13LoopSchedulerE0ELNS_15PipelineVersionE0EEELb0EEEvNT_8ArgumentE
	.globl	_ZN2ck23kernel_gemm_xdlops_v2r3INS_43GridwiseGemm_k0mk1_k0nk1_mn_xdlops_v2r3_extILi256EdddLNS_25InMemoryDataOperationEnumE0ENS_13tensor_layout4gemm8RowMajorENS4_11ColumnMajorES5_NS_16tensor_operation12element_wise11PassThroughES9_S9_LNS7_6device18GemmSpecializationE0ELi128ELi128ELi4ELi16ELi16ELi2ELi4ELi2ENS_8SequenceIJLi4ELi64ELi1EEEENSC_IJLi1ELi0ELi2EEEESE_Li2ELi2ELi2ELb0ELb1ESD_SE_SE_Li2ELi2ELi2ELb0ELb1ENSC_IJLi0ELi2ELi4ELi5ELi6ELi1ELi3ELi7EEEELi7ELi1ELi1ELNS_13LoopSchedulerE0ELNS_15PipelineVersionE0EEELb0EEEvNT_8ArgumentE
	.p2align	8
	.type	_ZN2ck23kernel_gemm_xdlops_v2r3INS_43GridwiseGemm_k0mk1_k0nk1_mn_xdlops_v2r3_extILi256EdddLNS_25InMemoryDataOperationEnumE0ENS_13tensor_layout4gemm8RowMajorENS4_11ColumnMajorES5_NS_16tensor_operation12element_wise11PassThroughES9_S9_LNS7_6device18GemmSpecializationE0ELi128ELi128ELi4ELi16ELi16ELi2ELi4ELi2ENS_8SequenceIJLi4ELi64ELi1EEEENSC_IJLi1ELi0ELi2EEEESE_Li2ELi2ELi2ELb0ELb1ESD_SE_SE_Li2ELi2ELi2ELb0ELb1ENSC_IJLi0ELi2ELi4ELi5ELi6ELi1ELi3ELi7EEEELi7ELi1ELi1ELNS_13LoopSchedulerE0ELNS_15PipelineVersionE0EEELb0EEEvNT_8ArgumentE,@function
_ZN2ck23kernel_gemm_xdlops_v2r3INS_43GridwiseGemm_k0mk1_k0nk1_mn_xdlops_v2r3_extILi256EdddLNS_25InMemoryDataOperationEnumE0ENS_13tensor_layout4gemm8RowMajorENS4_11ColumnMajorES5_NS_16tensor_operation12element_wise11PassThroughES9_S9_LNS7_6device18GemmSpecializationE0ELi128ELi128ELi4ELi16ELi16ELi2ELi4ELi2ENS_8SequenceIJLi4ELi64ELi1EEEENSC_IJLi1ELi0ELi2EEEESE_Li2ELi2ELi2ELb0ELb1ESD_SE_SE_Li2ELi2ELi2ELb0ELb1ENSC_IJLi0ELi2ELi4ELi5ELi6ELi1ELi3ELi7EEEELi7ELi1ELi1ELNS_13LoopSchedulerE0ELNS_15PipelineVersionE0EEELb0EEEvNT_8ArgumentE: ; @_ZN2ck23kernel_gemm_xdlops_v2r3INS_43GridwiseGemm_k0mk1_k0nk1_mn_xdlops_v2r3_extILi256EdddLNS_25InMemoryDataOperationEnumE0ENS_13tensor_layout4gemm8RowMajorENS4_11ColumnMajorES5_NS_16tensor_operation12element_wise11PassThroughES9_S9_LNS7_6device18GemmSpecializationE0ELi128ELi128ELi4ELi16ELi16ELi2ELi4ELi2ENS_8SequenceIJLi4ELi64ELi1EEEENSC_IJLi1ELi0ELi2EEEESE_Li2ELi2ELi2ELb0ELb1ESD_SE_SE_Li2ELi2ELi2ELb0ELb1ENSC_IJLi0ELi2ELi4ELi5ELi6ELi1ELi3ELi7EEEELi7ELi1ELi1ELNS_13LoopSchedulerE0ELNS_15PipelineVersionE0EEELb0EEEvNT_8ArgumentE
; %bb.0:
	s_clause 0x1
	s_load_b128 s[4:7], s[0:1], 0x10
	s_load_b64 s[16:17], s[0:1], 0x20
	s_mov_b32 s19, 0
	s_abs_i32 s24, ttmp9
	s_mov_b32 s10, s19
	s_mov_b32 s12, s19
	s_ashr_i32 s20, ttmp9, 31
	v_lshrrev_b32_e32 v17, 1, v0
	v_and_b32_e32 v18, 3, v0
	v_lshrrev_b32_e32 v20, 7, v0
	v_and_b32_e32 v0, 15, v0
	s_delay_alu instid0(VALU_DEP_4) | instskip(SKIP_1) | instid1(VALU_DEP_4)
	v_and_b32_e32 v19, 0x7e, v17
	v_and_b32_e32 v22, 8, v17
	v_lshlrev_b32_e32 v21, 6, v20
	s_delay_alu instid0(VALU_DEP_4) | instskip(NEXT) | instid1(VALU_DEP_2)
	v_and_or_b32 v0, v17, 48, v0
	v_sub_nc_u32_e32 v21, v17, v21
	s_wait_kmcnt 0x0
	s_add_co_i32 s2, s4, 0x7f
	s_add_co_i32 s3, s5, 0x7f
	s_ashr_i32 s8, s2, 31
	s_ashr_i32 s9, s3, 31
	s_lshr_b32 s8, s8, 25
	s_lshr_b32 s9, s9, 25
	s_add_co_i32 s2, s2, s8
	s_add_co_i32 s3, s3, s9
	s_ashr_i32 s2, s2, 7
	s_ashr_i32 s14, s3, 7
	s_add_co_i32 s11, s4, -1
	s_mul_i32 s3, s14, s2
	s_mov_b32 s18, s7
	s_abs_i32 s15, s3
	s_mul_u64 s[8:9], s[10:11], s[18:19]
	s_cvt_f32_u32 s3, s15
	s_sub_co_i32 s8, 0, s15
	s_add_co_i32 s13, s5, -1
	s_mov_b32 s18, s16
	v_rcp_iflag_f32_e32 v1, s3
	s_mul_u64 s[28:29], s[12:13], s[18:19]
	s_mov_b32 s18, s17
	s_ashr_i32 s21, s5, 31
	s_mul_u64 s[22:23], s[10:11], s[18:19]
	s_ashr_i32 s27, s9, 31
	s_ashr_i32 s31, s29, 31
	s_ashr_i32 s25, s23, 31
	s_mov_b32 s26, s9
	s_mov_b32 s30, s29
	v_readfirstlane_b32 s3, v1
	v_mul_u32_u24_e32 v17, 0x102, v18
	s_mul_f32 s4, s3, 0x4f7ffffe
	s_ashr_i32 s3, s6, 31
	s_delay_alu instid0(SALU_CYCLE_2) | instskip(NEXT) | instid1(SALU_CYCLE_3)
	s_cvt_u32_f32 s4, s4
	s_mul_i32 s8, s8, s4
	s_delay_alu instid0(SALU_CYCLE_1) | instskip(NEXT) | instid1(SALU_CYCLE_1)
	s_mul_hi_u32 s8, s4, s8
	s_add_co_i32 s4, s4, s8
	s_delay_alu instid0(SALU_CYCLE_1) | instskip(NEXT) | instid1(SALU_CYCLE_1)
	s_mul_hi_u32 s4, s24, s4
	s_mul_i32 s4, s4, s15
	s_delay_alu instid0(SALU_CYCLE_1) | instskip(NEXT) | instid1(SALU_CYCLE_1)
	s_sub_co_i32 s4, s24, s4
	s_sub_co_i32 s8, s4, s15
	s_cmp_ge_u32 s4, s15
	s_cselect_b32 s4, s8, s4
	s_delay_alu instid0(SALU_CYCLE_1)
	s_sub_co_i32 s8, s4, s15
	s_cmp_ge_u32 s4, s15
	s_cselect_b32 s4, s8, s4
	s_abs_i32 s8, s14
	s_xor_b32 s4, s4, s20
	s_cvt_f32_u32 s10, s8
	s_sub_co_i32 s11, 0, s8
	s_sub_co_i32 s4, s4, s20
	s_delay_alu instid0(SALU_CYCLE_1) | instskip(SKIP_1) | instid1(TRANS32_DEP_1)
	v_rcp_iflag_f32_e32 v1, s10
	s_abs_i32 s12, s4
	v_readfirstlane_b32 s10, v1
	s_mul_f32 s10, s10, 0x4f7ffffe
	s_wait_alu 0xfffe
	s_delay_alu instid0(SALU_CYCLE_2) | instskip(SKIP_1) | instid1(SALU_CYCLE_2)
	s_cvt_u32_f32 s10, s10
	s_wait_alu 0xfffe
	s_mul_i32 s11, s11, s10
	s_wait_alu 0xfffe
	s_mul_hi_u32 s11, s10, s11
	s_wait_alu 0xfffe
	s_add_co_i32 s10, s10, s11
	s_xor_b32 s11, s4, s14
	s_wait_alu 0xfffe
	s_mul_hi_u32 s10, s12, s10
	s_ashr_i32 s11, s11, 31
	s_wait_alu 0xfffe
	s_mul_i32 s13, s10, s8
	s_delay_alu instid0(SALU_CYCLE_1)
	s_sub_co_i32 s12, s12, s13
	s_add_co_i32 s13, s10, 1
	s_sub_co_i32 s15, s12, s8
	s_cmp_ge_u32 s12, s8
	s_cselect_b32 s10, s13, s10
	s_cselect_b32 s12, s15, s12
	s_wait_alu 0xfffe
	s_add_co_i32 s13, s10, 1
	s_cmp_ge_u32 s12, s8
	s_cselect_b32 s8, s13, s10
	s_lshr_b32 s10, s2, 29
	s_xor_b32 s8, s8, s11
	s_wait_alu 0xfffe
	s_add_co_i32 s10, s2, s10
	s_sub_co_i32 s8, s8, s11
	s_wait_alu 0xfffe
	s_and_b32 s10, s10, -8
	s_mul_i32 s13, s8, s14
	s_wait_alu 0xfffe
	s_sub_co_i32 s2, s2, s10
	s_cmp_ge_i32 s8, s10
	s_wait_alu 0xfffe
	s_cselect_b32 s2, s2, 8
	s_ashr_i32 s12, s8, 31
	s_wait_alu 0xfffe
	s_abs_i32 s10, s2
	s_lshr_b32 s12, s12, 29
	s_wait_alu 0xfffe
	s_cvt_f32_u32 s11, s10
	s_add_co_i32 s12, s8, s12
	s_sub_co_i32 s4, s4, s13
	s_and_b32 s18, s12, -8
	s_wait_alu 0xfffe
	v_rcp_iflag_f32_e32 v1, s11
	s_sub_co_i32 s8, s8, s18
	s_sub_co_i32 s12, 0, s10
	s_mul_i32 s8, s8, s14
	s_delay_alu instid0(SALU_CYCLE_1) | instskip(NEXT) | instid1(TRANS32_DEP_1)
	s_add_co_i32 s8, s8, s4
	v_readfirstlane_b32 s11, v1
	v_lshlrev_b32_e32 v1, 1, v18
	v_lshlrev_b32_e32 v18, 1, v19
	s_mul_f32 s11, s11, 0x4f7ffffe
	s_wait_alu 0xfffe
	s_delay_alu instid0(SALU_CYCLE_2) | instskip(SKIP_1) | instid1(SALU_CYCLE_2)
	s_cvt_u32_f32 s11, s11
	s_wait_alu 0xfffe
	s_mul_i32 s12, s12, s11
	s_delay_alu instid0(SALU_CYCLE_1)
	s_mul_hi_u32 s4, s11, s12
	s_abs_i32 s12, s8
	s_add_co_i32 s11, s11, s4
	s_wait_alu 0xfffe
	s_mul_hi_u32 s4, s12, s11
	s_xor_b32 s11, s8, s2
	s_mul_i32 s13, s4, s10
	s_wait_alu 0xfffe
	s_ashr_i32 s20, s11, 31
	s_sub_co_i32 s11, s12, s13
	s_add_co_i32 s22, s4, 1
	s_wait_alu 0xfffe
	s_sub_co_i32 s24, s11, s10
	s_cmp_ge_u32 s11, s10
	s_load_b128 s[12:15], s[0:1], 0x38
	s_cselect_b32 s4, s22, s4
	s_cselect_b32 s11, s24, s11
	s_add_co_i32 s22, s4, 1
	s_wait_alu 0xfffe
	s_cmp_ge_u32 s11, s10
	s_mov_b32 s11, 0x31004000
	s_cselect_b32 s4, s22, s4
	s_load_b64 s[0:1], s[0:1], 0x48
	s_xor_b32 s4, s4, s20
	s_mov_b32 s24, s23
	s_sub_co_i32 s4, s4, s20
	s_mov_b32 s20, s5
	s_mul_i32 s2, s4, s2
	s_lshl_b32 s4, s4, 7
	s_wait_alu 0xfffe
	s_sub_co_i32 s2, s8, s2
	v_or_b32_e32 v4, s4, v19
	s_wait_alu 0xfffe
	s_add_co_i32 s18, s18, s2
	s_mov_b32 s2, s6
	s_lshl_b32 s18, s18, 7
	s_wait_alu 0xfffe
	s_add_nc_u64 s[26:27], s[26:27], s[2:3]
	v_or_b32_e32 v2, s18, v19
	s_wait_kmcnt 0x0
	s_mov_b32 s8, s12
	s_add_nc_u64 s[2:3], s[30:31], s[2:3]
	s_lshl_b32 s10, s26, 3
	s_and_b32 s9, s13, 0xffff
	v_mad_co_u64_u32 v[2:3], null, v2, s7, v[1:2]
	v_add_nc_u32_e32 v21, s4, v21
	s_delay_alu instid0(VALU_DEP_1) | instskip(NEXT) | instid1(VALU_DEP_3)
	v_lshrrev_b32_e32 v21, 6, v21
	v_mad_co_u64_u32 v[3:4], null, v4, s16, v[1:2]
	v_lshlrev_b32_e32 v1, 3, v2
	v_add_lshl_u32 v5, v2, s7, 3
	s_delay_alu instid0(VALU_DEP_3)
	v_lshlrev_b32_e32 v9, 3, v3
	v_add_lshl_u32 v13, v3, s16, 3
	s_clause 0x1
	buffer_load_b128 v[1:4], v1, s[8:11], null offen
	buffer_load_b128 v[5:8], v5, s[8:11], null offen
	s_lshl_b32 s10, s2, 3
	s_and_b32 s9, s15, 0xffff
	s_mov_b32 s8, s14
	s_clause 0x1
	buffer_load_b128 v[9:12], v9, s[8:11], null offen
	buffer_load_b128 v[13:16], v13, s[8:11], null offen
	s_getpc_b64 s[2:3]
	s_wait_alu 0xfffe
	s_sext_i32_i16 s3, s3
	s_add_co_u32 s2, s2, _ZN2ck51BlockwiseGemmXdlops_k0mk1_k0nk1_m0n0m1n1m2m3m4n2_v1ILi256EdddKNS_16TensorDescriptorINS_5TupleIJNS_5EmbedINS2_IJNS_17integral_constantIiLi4EEENS4_IiLi128EEENS4_IiLi2EEEEEENS2_IJNS4_IiLi258EEES7_NS4_IiLi1EEEEEELb0EEEEEENS2_IJNS_8SequenceIJLi0EEEEEEENS2_IJNSE_IJLi1ELi2ELi3EEEEEEESH_NS4_IlLl1030EEEEESL_Li16ELi16ELi4ELi2ELi2EddE6MWavesE@rel32@lo+12
	s_wait_alu 0xfffe
	s_add_co_ci_u32 s3, s3, _ZN2ck51BlockwiseGemmXdlops_k0mk1_k0nk1_m0n0m1n1m2m3m4n2_v1ILi256EdddKNS_16TensorDescriptorINS_5TupleIJNS_5EmbedINS2_IJNS_17integral_constantIiLi4EEENS4_IiLi128EEENS4_IiLi2EEEEEENS2_IJNS4_IiLi258EEES7_NS4_IiLi1EEEEEELb0EEEEEENS2_IJNS_8SequenceIJLi0EEEEEEENS2_IJNSE_IJLi1ELi2ELi3EEEEEEESH_NS4_IlLl1030EEEEESL_Li16ELi16ELi4ELi2ELi2EddE6MWavesE@rel32@hi+24
	s_load_b32 s6, s[2:3], 0x0
	s_getpc_b64 s[2:3]
	s_wait_alu 0xfffe
	s_sext_i32_i16 s3, s3
	s_add_co_u32 s2, s2, _ZN2ck51BlockwiseGemmXdlops_k0mk1_k0nk1_m0n0m1n1m2m3m4n2_v1ILi256EdddKNS_16TensorDescriptorINS_5TupleIJNS_5EmbedINS2_IJNS_17integral_constantIiLi4EEENS4_IiLi128EEENS4_IiLi2EEEEEENS2_IJNS4_IiLi258EEES7_NS4_IiLi1EEEEEELb0EEEEEENS2_IJNS_8SequenceIJLi0EEEEEEENS2_IJNSE_IJLi1ELi2ELi3EEEEEEESH_NS4_IlLl1030EEEEESL_Li16ELi16ELi4ELi2ELi2EddE6NWavesE@rel32@lo+12
	s_wait_alu 0xfffe
	s_add_co_ci_u32 s3, s3, _ZN2ck51BlockwiseGemmXdlops_k0mk1_k0nk1_m0n0m1n1m2m3m4n2_v1ILi256EdddKNS_16TensorDescriptorINS_5TupleIJNS_5EmbedINS2_IJNS_17integral_constantIiLi4EEENS4_IiLi128EEENS4_IiLi2EEEEEENS2_IJNS4_IiLi258EEES7_NS4_IiLi1EEEEEELb0EEEEEENS2_IJNS_8SequenceIJLi0EEEEEEENS2_IJNSE_IJLi1ELi2ELi3EEEEEEESH_NS4_IlLl1030EEEEESL_Li16ELi16ELi4ELi2ELi2EddE6NWavesE@rel32@hi+24
	s_and_b32 s1, s1, 0xffff
	s_load_b32 s2, s[2:3], 0x0
	s_lshr_b32 s3, s18, 5
	s_mov_b32 s18, s19
	v_lshlrev_b32_e32 v20, 4, v20
	s_wait_kmcnt 0x0
	s_lshl_b32 s8, s6, 4
	s_add_nc_u64 s[6:7], s[24:25], s[20:21]
	s_wait_alu 0xfffe
	s_mul_i32 s3, s3, s8
	s_lshl_b32 s4, s2, 4
	s_wait_alu 0xfffe
	v_or3_b32 v20, v20, v22, s3
	v_mul_lo_u32 v21, v21, s4
	s_mul_i32 s8, s8, s17
	s_mov_b32 s3, s11
	s_lshl_b32 s2, s6, 3
	v_mul_lo_u32 v20, v20, s17
	s_delay_alu instid0(VALU_DEP_1)
	v_add3_u32 v0, v0, v21, v20
	v_add_lshl_u32 v21, v18, v17, 3
	v_dual_mov_b32 v17, s18 :: v_dual_mov_b32 v18, s19
	s_wait_loadcnt 0x3
	ds_store_b128 v21, v[1:4]
	s_wait_loadcnt 0x2
	ds_store_b128 v21, v[5:8] offset:16
	s_wait_loadcnt 0x1
	ds_store_b128 v21, v[9:12] offset:8240
	;; [unrolled: 2-line block ×3, first 2 shown]
	v_add_nc_u32_e32 v20, s4, v0
	v_add_nc_u32_e32 v24, s17, v0
	v_lshlrev_b32_e32 v0, 3, v0
	s_wait_dscnt 0x0
	s_barrier_signal -1
	v_add_nc_u32_e32 v19, s17, v20
	v_lshlrev_b32_e32 v20, 3, v20
	v_lshlrev_b32_e32 v26, 3, v24
	v_add_lshl_u32 v24, v24, s17, 3
	s_barrier_wait -1
	v_add_nc_u32_e32 v22, s17, v19
	v_lshlrev_b32_e32 v19, 3, v19
	s_delay_alu instid0(VALU_DEP_2) | instskip(SKIP_1) | instid1(VALU_DEP_2)
	v_add_nc_u32_e32 v23, s17, v22
	v_lshlrev_b32_e32 v22, 3, v22
	v_add_nc_u32_e32 v25, s17, v23
	v_subrev_nc_u32_e32 v28, s4, v23
	v_lshlrev_b32_e32 v23, 3, v23
	s_delay_alu instid0(VALU_DEP_3) | instskip(NEXT) | instid1(VALU_DEP_3)
	v_add_nc_u32_e32 v27, s17, v25
	v_lshlrev_b32_e32 v30, 3, v28
	v_add_lshl_u32 v28, v28, s17, 3
	v_lshlrev_b32_e32 v25, 3, v25
	s_delay_alu instid0(VALU_DEP_4) | instskip(SKIP_2) | instid1(VALU_DEP_3)
	v_add_nc_u32_e32 v29, s17, v27
	v_subrev_nc_u32_e32 v31, s4, v27
	v_lshlrev_b32_e32 v27, 3, v27
	v_add_nc_u32_e32 v32, s17, v29
	v_add_nc_u32_e32 v34, s8, v29
	s_delay_alu instid0(VALU_DEP_4)
	v_lshlrev_b32_e32 v33, 3, v31
	v_add_lshl_u32 v31, v31, s17, 3
	v_lshlrev_b32_e32 v29, 3, v29
	v_add_nc_u32_e32 v35, s8, v32
	v_subrev_nc_u32_e32 v37, s4, v34
	v_lshlrev_b32_e32 v36, 3, v32
	v_subrev_nc_u32_e32 v32, s4, v32
	v_lshlrev_b32_e32 v39, 3, v34
	v_add_nc_u32_e32 v38, s8, v35
	v_subrev_nc_u32_e32 v41, s17, v37
	v_add_lshl_u32 v34, v34, s8, 3
	v_lshlrev_b32_e32 v40, 3, v32
	v_add_lshl_u32 v32, v32, s8, 3
	v_add_nc_u32_e32 v42, s8, v38
	v_add_nc_u32_e32 v45, s4, v41
	v_lshlrev_b32_e32 v43, 3, v41
	v_add_nc_u32_e32 v41, s8, v41
	v_lshlrev_b32_e32 v46, 3, v38
	v_subrev_nc_u32_e32 v44, s17, v42
	v_subrev_nc_u32_e32 v49, s17, v45
	;; [unrolled: 1-line block ×3, first 2 shown]
	v_lshlrev_b32_e32 v35, 3, v35
	v_lshlrev_b32_e32 v37, 3, v37
	v_subrev_nc_u32_e32 v47, s4, v44
	v_subrev_nc_u32_e32 v53, s4, v49
	v_lshlrev_b32_e32 v48, 3, v45
	v_add_lshl_u32 v45, v45, s8, 3
	v_lshlrev_b32_e32 v50, 3, v41
	v_subrev_nc_u32_e32 v51, s17, v47
	v_subrev_nc_u32_e32 v56, s17, v53
	v_add_lshl_u32 v41, v41, s17, 3
	v_lshlrev_b32_e32 v52, 3, v38
	v_add_lshl_u32 v38, v38, s8, 3
	v_add_nc_u32_e32 v54, s4, v51
	v_add_nc_u32_e32 v58, s4, v56
	v_lshlrev_b32_e32 v60, 3, v56
	v_add_nc_u32_e32 v56, s8, v56
	v_lshlrev_b32_e32 v42, 3, v42
	v_subrev_nc_u32_e32 v57, s17, v54
	v_subrev_nc_u32_e32 v63, s17, v58
	v_lshlrev_b32_e32 v55, 3, v49
	v_add_lshl_u32 v49, v49, s8, 3
	v_lshlrev_b32_e32 v44, 3, v44
	v_subrev_nc_u32_e32 v59, s4, v57
	v_subrev_nc_u32_e32 v66, s4, v63
	v_lshlrev_b32_e32 v53, 3, v53
	v_lshlrev_b32_e32 v47, 3, v47
	;; [unrolled: 1-line block ×3, first 2 shown]
	v_subrev_nc_u32_e32 v62, s17, v59
	v_subrev_nc_u32_e32 v69, s17, v66
	v_lshlrev_b32_e32 v61, 3, v58
	v_add_lshl_u32 v58, v58, s8, 3
	v_lshlrev_b32_e32 v64, 3, v56
	v_add_nc_u32_e32 v65, s4, v62
	v_add_nc_u32_e32 v71, s4, v69
	v_lshlrev_b32_e32 v72, 3, v69
	v_add_nc_u32_e32 v69, s8, v69
	v_add_lshl_u32 v56, v56, s17, 3
	v_subrev_nc_u32_e32 v68, s17, v65
	v_subrev_nc_u32_e32 v75, s17, v71
	v_lshlrev_b32_e32 v54, 3, v54
	v_lshlrev_b32_e32 v67, 3, v63
	v_add_lshl_u32 v63, v63, s8, 3
	v_subrev_nc_u32_e32 v70, s4, v68
	v_subrev_nc_u32_e32 v78, s4, v75
	v_lshlrev_b32_e32 v57, 3, v57
	v_lshlrev_b32_e32 v66, 3, v66
	;; [unrolled: 1-line block ×3, first 2 shown]
	v_subrev_nc_u32_e32 v73, s17, v70
	v_lshlrev_b32_e32 v62, 3, v62
	v_lshlrev_b32_e32 v74, 3, v71
	v_add_lshl_u32 v71, v71, s8, 3
	v_lshlrev_b32_e32 v76, 3, v69
	v_add_nc_u32_e32 v77, s4, v73
	v_add_lshl_u32 v69, v69, s17, 3
	v_lshlrev_b32_e32 v65, 3, v65
	v_lshlrev_b32_e32 v79, 3, v75
	v_add_lshl_u32 v75, v75, s8, 3
	v_subrev_nc_u32_e32 v80, s17, v77
	v_lshlrev_b32_e32 v68, 3, v68
	v_lshlrev_b32_e32 v81, 3, v78
	v_add_lshl_u32 v78, v78, s8, 3
	v_lshlrev_b32_e32 v70, 3, v70
	v_subrev_nc_u32_e32 v82, s4, v80
	v_lshlrev_b32_e32 v73, 3, v73
	v_lshlrev_b32_e32 v77, 3, v77
	;; [unrolled: 1-line block ×3, first 2 shown]
	s_delay_alu instid0(VALU_DEP_4)
	v_lshlrev_b32_e32 v82, 3, v82
	s_clause 0x1f
	buffer_store_b64 v[17:18], v0, s[0:3], null offen
	buffer_store_b64 v[17:18], v20, s[0:3], null offen
	;; [unrolled: 1-line block ×32, first 2 shown]
	s_clause 0x1f
	buffer_store_b64 v[17:18], v78, s[0:3], null offen
	buffer_store_b64 v[17:18], v75, s[0:3], null offen
	;; [unrolled: 1-line block ×32, first 2 shown]
	s_endpgm
	.section	.rodata,"a",@progbits
	.p2align	6, 0x0
	.amdhsa_kernel _ZN2ck23kernel_gemm_xdlops_v2r3INS_43GridwiseGemm_k0mk1_k0nk1_mn_xdlops_v2r3_extILi256EdddLNS_25InMemoryDataOperationEnumE0ENS_13tensor_layout4gemm8RowMajorENS4_11ColumnMajorES5_NS_16tensor_operation12element_wise11PassThroughES9_S9_LNS7_6device18GemmSpecializationE0ELi128ELi128ELi4ELi16ELi16ELi2ELi4ELi2ENS_8SequenceIJLi4ELi64ELi1EEEENSC_IJLi1ELi0ELi2EEEESE_Li2ELi2ELi2ELb0ELb1ESD_SE_SE_Li2ELi2ELi2ELb0ELb1ENSC_IJLi0ELi2ELi4ELi5ELi6ELi1ELi3ELi7EEEELi7ELi1ELi1ELNS_13LoopSchedulerE0ELNS_15PipelineVersionE0EEELb0EEEvNT_8ArgumentE
		.amdhsa_group_segment_fixed_size 16480
		.amdhsa_private_segment_fixed_size 0
		.amdhsa_kernarg_size 80
		.amdhsa_user_sgpr_count 2
		.amdhsa_user_sgpr_dispatch_ptr 0
		.amdhsa_user_sgpr_queue_ptr 0
		.amdhsa_user_sgpr_kernarg_segment_ptr 1
		.amdhsa_user_sgpr_dispatch_id 0
		.amdhsa_user_sgpr_private_segment_size 0
		.amdhsa_wavefront_size32 1
		.amdhsa_uses_dynamic_stack 0
		.amdhsa_enable_private_segment 0
		.amdhsa_system_sgpr_workgroup_id_x 1
		.amdhsa_system_sgpr_workgroup_id_y 0
		.amdhsa_system_sgpr_workgroup_id_z 0
		.amdhsa_system_sgpr_workgroup_info 0
		.amdhsa_system_vgpr_workitem_id 0
		.amdhsa_next_free_vgpr 83
		.amdhsa_next_free_sgpr 32
		.amdhsa_reserve_vcc 0
		.amdhsa_float_round_mode_32 0
		.amdhsa_float_round_mode_16_64 0
		.amdhsa_float_denorm_mode_32 3
		.amdhsa_float_denorm_mode_16_64 3
		.amdhsa_fp16_overflow 0
		.amdhsa_workgroup_processor_mode 1
		.amdhsa_memory_ordered 1
		.amdhsa_forward_progress 1
		.amdhsa_inst_pref_size 20
		.amdhsa_round_robin_scheduling 0
		.amdhsa_exception_fp_ieee_invalid_op 0
		.amdhsa_exception_fp_denorm_src 0
		.amdhsa_exception_fp_ieee_div_zero 0
		.amdhsa_exception_fp_ieee_overflow 0
		.amdhsa_exception_fp_ieee_underflow 0
		.amdhsa_exception_fp_ieee_inexact 0
		.amdhsa_exception_int_div_zero 0
	.end_amdhsa_kernel
	.section	.text._ZN2ck23kernel_gemm_xdlops_v2r3INS_43GridwiseGemm_k0mk1_k0nk1_mn_xdlops_v2r3_extILi256EdddLNS_25InMemoryDataOperationEnumE0ENS_13tensor_layout4gemm8RowMajorENS4_11ColumnMajorES5_NS_16tensor_operation12element_wise11PassThroughES9_S9_LNS7_6device18GemmSpecializationE0ELi128ELi128ELi4ELi16ELi16ELi2ELi4ELi2ENS_8SequenceIJLi4ELi64ELi1EEEENSC_IJLi1ELi0ELi2EEEESE_Li2ELi2ELi2ELb0ELb1ESD_SE_SE_Li2ELi2ELi2ELb0ELb1ENSC_IJLi0ELi2ELi4ELi5ELi6ELi1ELi3ELi7EEEELi7ELi1ELi1ELNS_13LoopSchedulerE0ELNS_15PipelineVersionE0EEELb0EEEvNT_8ArgumentE,"axG",@progbits,_ZN2ck23kernel_gemm_xdlops_v2r3INS_43GridwiseGemm_k0mk1_k0nk1_mn_xdlops_v2r3_extILi256EdddLNS_25InMemoryDataOperationEnumE0ENS_13tensor_layout4gemm8RowMajorENS4_11ColumnMajorES5_NS_16tensor_operation12element_wise11PassThroughES9_S9_LNS7_6device18GemmSpecializationE0ELi128ELi128ELi4ELi16ELi16ELi2ELi4ELi2ENS_8SequenceIJLi4ELi64ELi1EEEENSC_IJLi1ELi0ELi2EEEESE_Li2ELi2ELi2ELb0ELb1ESD_SE_SE_Li2ELi2ELi2ELb0ELb1ENSC_IJLi0ELi2ELi4ELi5ELi6ELi1ELi3ELi7EEEELi7ELi1ELi1ELNS_13LoopSchedulerE0ELNS_15PipelineVersionE0EEELb0EEEvNT_8ArgumentE,comdat
.Lfunc_end4:
	.size	_ZN2ck23kernel_gemm_xdlops_v2r3INS_43GridwiseGemm_k0mk1_k0nk1_mn_xdlops_v2r3_extILi256EdddLNS_25InMemoryDataOperationEnumE0ENS_13tensor_layout4gemm8RowMajorENS4_11ColumnMajorES5_NS_16tensor_operation12element_wise11PassThroughES9_S9_LNS7_6device18GemmSpecializationE0ELi128ELi128ELi4ELi16ELi16ELi2ELi4ELi2ENS_8SequenceIJLi4ELi64ELi1EEEENSC_IJLi1ELi0ELi2EEEESE_Li2ELi2ELi2ELb0ELb1ESD_SE_SE_Li2ELi2ELi2ELb0ELb1ENSC_IJLi0ELi2ELi4ELi5ELi6ELi1ELi3ELi7EEEELi7ELi1ELi1ELNS_13LoopSchedulerE0ELNS_15PipelineVersionE0EEELb0EEEvNT_8ArgumentE, .Lfunc_end4-_ZN2ck23kernel_gemm_xdlops_v2r3INS_43GridwiseGemm_k0mk1_k0nk1_mn_xdlops_v2r3_extILi256EdddLNS_25InMemoryDataOperationEnumE0ENS_13tensor_layout4gemm8RowMajorENS4_11ColumnMajorES5_NS_16tensor_operation12element_wise11PassThroughES9_S9_LNS7_6device18GemmSpecializationE0ELi128ELi128ELi4ELi16ELi16ELi2ELi4ELi2ENS_8SequenceIJLi4ELi64ELi1EEEENSC_IJLi1ELi0ELi2EEEESE_Li2ELi2ELi2ELb0ELb1ESD_SE_SE_Li2ELi2ELi2ELb0ELb1ENSC_IJLi0ELi2ELi4ELi5ELi6ELi1ELi3ELi7EEEELi7ELi1ELi1ELNS_13LoopSchedulerE0ELNS_15PipelineVersionE0EEELb0EEEvNT_8ArgumentE
                                        ; -- End function
	.set _ZN2ck23kernel_gemm_xdlops_v2r3INS_43GridwiseGemm_k0mk1_k0nk1_mn_xdlops_v2r3_extILi256EdddLNS_25InMemoryDataOperationEnumE0ENS_13tensor_layout4gemm8RowMajorENS4_11ColumnMajorES5_NS_16tensor_operation12element_wise11PassThroughES9_S9_LNS7_6device18GemmSpecializationE0ELi128ELi128ELi4ELi16ELi16ELi2ELi4ELi2ENS_8SequenceIJLi4ELi64ELi1EEEENSC_IJLi1ELi0ELi2EEEESE_Li2ELi2ELi2ELb0ELb1ESD_SE_SE_Li2ELi2ELi2ELb0ELb1ENSC_IJLi0ELi2ELi4ELi5ELi6ELi1ELi3ELi7EEEELi7ELi1ELi1ELNS_13LoopSchedulerE0ELNS_15PipelineVersionE0EEELb0EEEvNT_8ArgumentE.num_vgpr, 83
	.set _ZN2ck23kernel_gemm_xdlops_v2r3INS_43GridwiseGemm_k0mk1_k0nk1_mn_xdlops_v2r3_extILi256EdddLNS_25InMemoryDataOperationEnumE0ENS_13tensor_layout4gemm8RowMajorENS4_11ColumnMajorES5_NS_16tensor_operation12element_wise11PassThroughES9_S9_LNS7_6device18GemmSpecializationE0ELi128ELi128ELi4ELi16ELi16ELi2ELi4ELi2ENS_8SequenceIJLi4ELi64ELi1EEEENSC_IJLi1ELi0ELi2EEEESE_Li2ELi2ELi2ELb0ELb1ESD_SE_SE_Li2ELi2ELi2ELb0ELb1ENSC_IJLi0ELi2ELi4ELi5ELi6ELi1ELi3ELi7EEEELi7ELi1ELi1ELNS_13LoopSchedulerE0ELNS_15PipelineVersionE0EEELb0EEEvNT_8ArgumentE.num_agpr, 0
	.set _ZN2ck23kernel_gemm_xdlops_v2r3INS_43GridwiseGemm_k0mk1_k0nk1_mn_xdlops_v2r3_extILi256EdddLNS_25InMemoryDataOperationEnumE0ENS_13tensor_layout4gemm8RowMajorENS4_11ColumnMajorES5_NS_16tensor_operation12element_wise11PassThroughES9_S9_LNS7_6device18GemmSpecializationE0ELi128ELi128ELi4ELi16ELi16ELi2ELi4ELi2ENS_8SequenceIJLi4ELi64ELi1EEEENSC_IJLi1ELi0ELi2EEEESE_Li2ELi2ELi2ELb0ELb1ESD_SE_SE_Li2ELi2ELi2ELb0ELb1ENSC_IJLi0ELi2ELi4ELi5ELi6ELi1ELi3ELi7EEEELi7ELi1ELi1ELNS_13LoopSchedulerE0ELNS_15PipelineVersionE0EEELb0EEEvNT_8ArgumentE.numbered_sgpr, 32
	.set _ZN2ck23kernel_gemm_xdlops_v2r3INS_43GridwiseGemm_k0mk1_k0nk1_mn_xdlops_v2r3_extILi256EdddLNS_25InMemoryDataOperationEnumE0ENS_13tensor_layout4gemm8RowMajorENS4_11ColumnMajorES5_NS_16tensor_operation12element_wise11PassThroughES9_S9_LNS7_6device18GemmSpecializationE0ELi128ELi128ELi4ELi16ELi16ELi2ELi4ELi2ENS_8SequenceIJLi4ELi64ELi1EEEENSC_IJLi1ELi0ELi2EEEESE_Li2ELi2ELi2ELb0ELb1ESD_SE_SE_Li2ELi2ELi2ELb0ELb1ENSC_IJLi0ELi2ELi4ELi5ELi6ELi1ELi3ELi7EEEELi7ELi1ELi1ELNS_13LoopSchedulerE0ELNS_15PipelineVersionE0EEELb0EEEvNT_8ArgumentE.num_named_barrier, 0
	.set _ZN2ck23kernel_gemm_xdlops_v2r3INS_43GridwiseGemm_k0mk1_k0nk1_mn_xdlops_v2r3_extILi256EdddLNS_25InMemoryDataOperationEnumE0ENS_13tensor_layout4gemm8RowMajorENS4_11ColumnMajorES5_NS_16tensor_operation12element_wise11PassThroughES9_S9_LNS7_6device18GemmSpecializationE0ELi128ELi128ELi4ELi16ELi16ELi2ELi4ELi2ENS_8SequenceIJLi4ELi64ELi1EEEENSC_IJLi1ELi0ELi2EEEESE_Li2ELi2ELi2ELb0ELb1ESD_SE_SE_Li2ELi2ELi2ELb0ELb1ENSC_IJLi0ELi2ELi4ELi5ELi6ELi1ELi3ELi7EEEELi7ELi1ELi1ELNS_13LoopSchedulerE0ELNS_15PipelineVersionE0EEELb0EEEvNT_8ArgumentE.private_seg_size, 0
	.set _ZN2ck23kernel_gemm_xdlops_v2r3INS_43GridwiseGemm_k0mk1_k0nk1_mn_xdlops_v2r3_extILi256EdddLNS_25InMemoryDataOperationEnumE0ENS_13tensor_layout4gemm8RowMajorENS4_11ColumnMajorES5_NS_16tensor_operation12element_wise11PassThroughES9_S9_LNS7_6device18GemmSpecializationE0ELi128ELi128ELi4ELi16ELi16ELi2ELi4ELi2ENS_8SequenceIJLi4ELi64ELi1EEEENSC_IJLi1ELi0ELi2EEEESE_Li2ELi2ELi2ELb0ELb1ESD_SE_SE_Li2ELi2ELi2ELb0ELb1ENSC_IJLi0ELi2ELi4ELi5ELi6ELi1ELi3ELi7EEEELi7ELi1ELi1ELNS_13LoopSchedulerE0ELNS_15PipelineVersionE0EEELb0EEEvNT_8ArgumentE.uses_vcc, 0
	.set _ZN2ck23kernel_gemm_xdlops_v2r3INS_43GridwiseGemm_k0mk1_k0nk1_mn_xdlops_v2r3_extILi256EdddLNS_25InMemoryDataOperationEnumE0ENS_13tensor_layout4gemm8RowMajorENS4_11ColumnMajorES5_NS_16tensor_operation12element_wise11PassThroughES9_S9_LNS7_6device18GemmSpecializationE0ELi128ELi128ELi4ELi16ELi16ELi2ELi4ELi2ENS_8SequenceIJLi4ELi64ELi1EEEENSC_IJLi1ELi0ELi2EEEESE_Li2ELi2ELi2ELb0ELb1ESD_SE_SE_Li2ELi2ELi2ELb0ELb1ENSC_IJLi0ELi2ELi4ELi5ELi6ELi1ELi3ELi7EEEELi7ELi1ELi1ELNS_13LoopSchedulerE0ELNS_15PipelineVersionE0EEELb0EEEvNT_8ArgumentE.uses_flat_scratch, 0
	.set _ZN2ck23kernel_gemm_xdlops_v2r3INS_43GridwiseGemm_k0mk1_k0nk1_mn_xdlops_v2r3_extILi256EdddLNS_25InMemoryDataOperationEnumE0ENS_13tensor_layout4gemm8RowMajorENS4_11ColumnMajorES5_NS_16tensor_operation12element_wise11PassThroughES9_S9_LNS7_6device18GemmSpecializationE0ELi128ELi128ELi4ELi16ELi16ELi2ELi4ELi2ENS_8SequenceIJLi4ELi64ELi1EEEENSC_IJLi1ELi0ELi2EEEESE_Li2ELi2ELi2ELb0ELb1ESD_SE_SE_Li2ELi2ELi2ELb0ELb1ENSC_IJLi0ELi2ELi4ELi5ELi6ELi1ELi3ELi7EEEELi7ELi1ELi1ELNS_13LoopSchedulerE0ELNS_15PipelineVersionE0EEELb0EEEvNT_8ArgumentE.has_dyn_sized_stack, 0
	.set _ZN2ck23kernel_gemm_xdlops_v2r3INS_43GridwiseGemm_k0mk1_k0nk1_mn_xdlops_v2r3_extILi256EdddLNS_25InMemoryDataOperationEnumE0ENS_13tensor_layout4gemm8RowMajorENS4_11ColumnMajorES5_NS_16tensor_operation12element_wise11PassThroughES9_S9_LNS7_6device18GemmSpecializationE0ELi128ELi128ELi4ELi16ELi16ELi2ELi4ELi2ENS_8SequenceIJLi4ELi64ELi1EEEENSC_IJLi1ELi0ELi2EEEESE_Li2ELi2ELi2ELb0ELb1ESD_SE_SE_Li2ELi2ELi2ELb0ELb1ENSC_IJLi0ELi2ELi4ELi5ELi6ELi1ELi3ELi7EEEELi7ELi1ELi1ELNS_13LoopSchedulerE0ELNS_15PipelineVersionE0EEELb0EEEvNT_8ArgumentE.has_recursion, 0
	.set _ZN2ck23kernel_gemm_xdlops_v2r3INS_43GridwiseGemm_k0mk1_k0nk1_mn_xdlops_v2r3_extILi256EdddLNS_25InMemoryDataOperationEnumE0ENS_13tensor_layout4gemm8RowMajorENS4_11ColumnMajorES5_NS_16tensor_operation12element_wise11PassThroughES9_S9_LNS7_6device18GemmSpecializationE0ELi128ELi128ELi4ELi16ELi16ELi2ELi4ELi2ENS_8SequenceIJLi4ELi64ELi1EEEENSC_IJLi1ELi0ELi2EEEESE_Li2ELi2ELi2ELb0ELb1ESD_SE_SE_Li2ELi2ELi2ELb0ELb1ENSC_IJLi0ELi2ELi4ELi5ELi6ELi1ELi3ELi7EEEELi7ELi1ELi1ELNS_13LoopSchedulerE0ELNS_15PipelineVersionE0EEELb0EEEvNT_8ArgumentE.has_indirect_call, 0
	.section	.AMDGPU.csdata,"",@progbits
; Kernel info:
; codeLenInByte = 2504
; TotalNumSgprs: 32
; NumVgprs: 83
; ScratchSize: 0
; MemoryBound: 0
; FloatMode: 240
; IeeeMode: 1
; LDSByteSize: 16480 bytes/workgroup (compile time only)
; SGPRBlocks: 0
; VGPRBlocks: 10
; NumSGPRsForWavesPerEU: 32
; NumVGPRsForWavesPerEU: 83
; Occupancy: 14
; WaveLimiterHint : 0
; COMPUTE_PGM_RSRC2:SCRATCH_EN: 0
; COMPUTE_PGM_RSRC2:USER_SGPR: 2
; COMPUTE_PGM_RSRC2:TRAP_HANDLER: 0
; COMPUTE_PGM_RSRC2:TGID_X_EN: 1
; COMPUTE_PGM_RSRC2:TGID_Y_EN: 0
; COMPUTE_PGM_RSRC2:TGID_Z_EN: 0
; COMPUTE_PGM_RSRC2:TIDIG_COMP_CNT: 0
	.section	.text._ZN2ck17naive_gemm_kernelINS_13tensor_layout4gemm8RowMajorENS2_11ColumnMajorES3_ddddNS_16tensor_operation12element_wise11PassThroughES7_S7_ddEEvPKT2_PKT3_PT4_iiiT6_T7_T8_,"axG",@progbits,_ZN2ck17naive_gemm_kernelINS_13tensor_layout4gemm8RowMajorENS2_11ColumnMajorES3_ddddNS_16tensor_operation12element_wise11PassThroughES7_S7_ddEEvPKT2_PKT3_PT4_iiiT6_T7_T8_,comdat
	.protected	_ZN2ck17naive_gemm_kernelINS_13tensor_layout4gemm8RowMajorENS2_11ColumnMajorES3_ddddNS_16tensor_operation12element_wise11PassThroughES7_S7_ddEEvPKT2_PKT3_PT4_iiiT6_T7_T8_ ; -- Begin function _ZN2ck17naive_gemm_kernelINS_13tensor_layout4gemm8RowMajorENS2_11ColumnMajorES3_ddddNS_16tensor_operation12element_wise11PassThroughES7_S7_ddEEvPKT2_PKT3_PT4_iiiT6_T7_T8_
	.globl	_ZN2ck17naive_gemm_kernelINS_13tensor_layout4gemm8RowMajorENS2_11ColumnMajorES3_ddddNS_16tensor_operation12element_wise11PassThroughES7_S7_ddEEvPKT2_PKT3_PT4_iiiT6_T7_T8_
	.p2align	8
	.type	_ZN2ck17naive_gemm_kernelINS_13tensor_layout4gemm8RowMajorENS2_11ColumnMajorES3_ddddNS_16tensor_operation12element_wise11PassThroughES7_S7_ddEEvPKT2_PKT3_PT4_iiiT6_T7_T8_,@function
_ZN2ck17naive_gemm_kernelINS_13tensor_layout4gemm8RowMajorENS2_11ColumnMajorES3_ddddNS_16tensor_operation12element_wise11PassThroughES7_S7_ddEEvPKT2_PKT3_PT4_iiiT6_T7_T8_: ; @_ZN2ck17naive_gemm_kernelINS_13tensor_layout4gemm8RowMajorENS2_11ColumnMajorES3_ddddNS_16tensor_operation12element_wise11PassThroughES7_S7_ddEEvPKT2_PKT3_PT4_iiiT6_T7_T8_
; %bb.0:
	s_clause 0x1
	s_load_b32 s2, s[0:1], 0x34
	s_load_b96 s[4:6], s[0:1], 0x18
	v_and_b32_e32 v1, 0x3ff, v0
	v_bfe_u32 v2, v0, 10, 10
	s_wait_kmcnt 0x0
	s_lshr_b32 s3, s2, 16
	s_and_b32 s2, s2, 0xffff
	s_delay_alu instid0(VALU_DEP_1) | instid1(SALU_CYCLE_1)
	v_mad_co_u64_u32 v[0:1], null, ttmp9, s2, v[1:2]
	v_mad_co_u64_u32 v[1:2], null, ttmp7, s3, v[2:3]
	s_delay_alu instid0(VALU_DEP_2) | instskip(NEXT) | instid1(VALU_DEP_2)
	v_cmp_gt_i32_e32 vcc_lo, s4, v0
	v_cmp_gt_i32_e64 s2, s5, v1
	s_and_b32 s2, vcc_lo, s2
	s_wait_alu 0xfffe
	s_and_saveexec_b32 s3, s2
	s_cbranch_execz .LBB5_6
; %bb.1:
	s_load_b64 s[2:3], s[0:1], 0x10
	s_cmp_lt_i32 s6, 1
	s_cbranch_scc1 .LBB5_4
; %bb.2:
	s_load_b128 s[8:11], s[0:1], 0x0
	v_mul_lo_u32 v2, v1, s6
	v_mul_lo_u32 v4, v0, s6
	s_delay_alu instid0(VALU_DEP_2) | instskip(NEXT) | instid1(VALU_DEP_2)
	v_ashrrev_i32_e32 v3, 31, v2
	v_ashrrev_i32_e32 v5, 31, v4
	s_delay_alu instid0(VALU_DEP_2) | instskip(NEXT) | instid1(VALU_DEP_2)
	v_lshlrev_b64_e32 v[6:7], 3, v[2:3]
	v_lshlrev_b64_e32 v[8:9], 3, v[4:5]
	v_mov_b32_e32 v2, 0
	v_mov_b32_e32 v3, 0
	s_wait_kmcnt 0x0
	s_delay_alu instid0(VALU_DEP_4) | instskip(NEXT) | instid1(VALU_DEP_1)
	v_add_co_u32 v4, vcc_lo, s10, v6
	v_add_co_ci_u32_e64 v5, null, s11, v7, vcc_lo
	v_add_co_u32 v6, vcc_lo, s8, v8
	s_wait_alu 0xfffd
	v_add_co_ci_u32_e64 v7, null, s9, v9, vcc_lo
.LBB5_3:                                ; =>This Inner Loop Header: Depth=1
	global_load_b64 v[8:9], v[6:7], off
	global_load_b64 v[10:11], v[4:5], off
	v_add_co_u32 v4, vcc_lo, v4, 8
	s_wait_alu 0xfffd
	v_add_co_ci_u32_e64 v5, null, 0, v5, vcc_lo
	v_add_co_u32 v6, vcc_lo, v6, 8
	s_wait_alu 0xfffd
	v_add_co_ci_u32_e64 v7, null, 0, v7, vcc_lo
	s_add_co_i32 s6, s6, -1
	s_wait_alu 0xfffe
	s_cmp_eq_u32 s6, 0
	s_wait_loadcnt 0x0
	v_fma_f64 v[2:3], v[8:9], v[10:11], v[2:3]
	s_cbranch_scc0 .LBB5_3
	s_branch .LBB5_5
.LBB5_4:
	v_mov_b32_e32 v2, 0
	v_mov_b32_e32 v3, 0
.LBB5_5:
	s_delay_alu instid0(VALU_DEP_1) | instskip(NEXT) | instid1(VALU_DEP_1)
	v_mad_co_u64_u32 v[0:1], null, v0, s5, v[1:2]
	v_ashrrev_i32_e32 v1, 31, v0
	s_delay_alu instid0(VALU_DEP_1) | instskip(SKIP_1) | instid1(VALU_DEP_1)
	v_lshlrev_b64_e32 v[0:1], 3, v[0:1]
	s_wait_kmcnt 0x0
	v_add_co_u32 v0, vcc_lo, s2, v0
	s_wait_alu 0xfffd
	s_delay_alu instid0(VALU_DEP_2)
	v_add_co_ci_u32_e64 v1, null, s3, v1, vcc_lo
	global_store_b64 v[0:1], v[2:3], off
.LBB5_6:
	s_endpgm
	.section	.rodata,"a",@progbits
	.p2align	6, 0x0
	.amdhsa_kernel _ZN2ck17naive_gemm_kernelINS_13tensor_layout4gemm8RowMajorENS2_11ColumnMajorES3_ddddNS_16tensor_operation12element_wise11PassThroughES7_S7_ddEEvPKT2_PKT3_PT4_iiiT6_T7_T8_
		.amdhsa_group_segment_fixed_size 0
		.amdhsa_private_segment_fixed_size 0
		.amdhsa_kernarg_size 296
		.amdhsa_user_sgpr_count 2
		.amdhsa_user_sgpr_dispatch_ptr 0
		.amdhsa_user_sgpr_queue_ptr 0
		.amdhsa_user_sgpr_kernarg_segment_ptr 1
		.amdhsa_user_sgpr_dispatch_id 0
		.amdhsa_user_sgpr_private_segment_size 0
		.amdhsa_wavefront_size32 1
		.amdhsa_uses_dynamic_stack 0
		.amdhsa_enable_private_segment 0
		.amdhsa_system_sgpr_workgroup_id_x 1
		.amdhsa_system_sgpr_workgroup_id_y 1
		.amdhsa_system_sgpr_workgroup_id_z 0
		.amdhsa_system_sgpr_workgroup_info 0
		.amdhsa_system_vgpr_workitem_id 1
		.amdhsa_next_free_vgpr 12
		.amdhsa_next_free_sgpr 12
		.amdhsa_reserve_vcc 1
		.amdhsa_float_round_mode_32 0
		.amdhsa_float_round_mode_16_64 0
		.amdhsa_float_denorm_mode_32 3
		.amdhsa_float_denorm_mode_16_64 3
		.amdhsa_fp16_overflow 0
		.amdhsa_workgroup_processor_mode 1
		.amdhsa_memory_ordered 1
		.amdhsa_forward_progress 1
		.amdhsa_inst_pref_size 4
		.amdhsa_round_robin_scheduling 0
		.amdhsa_exception_fp_ieee_invalid_op 0
		.amdhsa_exception_fp_denorm_src 0
		.amdhsa_exception_fp_ieee_div_zero 0
		.amdhsa_exception_fp_ieee_overflow 0
		.amdhsa_exception_fp_ieee_underflow 0
		.amdhsa_exception_fp_ieee_inexact 0
		.amdhsa_exception_int_div_zero 0
	.end_amdhsa_kernel
	.section	.text._ZN2ck17naive_gemm_kernelINS_13tensor_layout4gemm8RowMajorENS2_11ColumnMajorES3_ddddNS_16tensor_operation12element_wise11PassThroughES7_S7_ddEEvPKT2_PKT3_PT4_iiiT6_T7_T8_,"axG",@progbits,_ZN2ck17naive_gemm_kernelINS_13tensor_layout4gemm8RowMajorENS2_11ColumnMajorES3_ddddNS_16tensor_operation12element_wise11PassThroughES7_S7_ddEEvPKT2_PKT3_PT4_iiiT6_T7_T8_,comdat
.Lfunc_end5:
	.size	_ZN2ck17naive_gemm_kernelINS_13tensor_layout4gemm8RowMajorENS2_11ColumnMajorES3_ddddNS_16tensor_operation12element_wise11PassThroughES7_S7_ddEEvPKT2_PKT3_PT4_iiiT6_T7_T8_, .Lfunc_end5-_ZN2ck17naive_gemm_kernelINS_13tensor_layout4gemm8RowMajorENS2_11ColumnMajorES3_ddddNS_16tensor_operation12element_wise11PassThroughES7_S7_ddEEvPKT2_PKT3_PT4_iiiT6_T7_T8_
                                        ; -- End function
	.set _ZN2ck17naive_gemm_kernelINS_13tensor_layout4gemm8RowMajorENS2_11ColumnMajorES3_ddddNS_16tensor_operation12element_wise11PassThroughES7_S7_ddEEvPKT2_PKT3_PT4_iiiT6_T7_T8_.num_vgpr, 12
	.set _ZN2ck17naive_gemm_kernelINS_13tensor_layout4gemm8RowMajorENS2_11ColumnMajorES3_ddddNS_16tensor_operation12element_wise11PassThroughES7_S7_ddEEvPKT2_PKT3_PT4_iiiT6_T7_T8_.num_agpr, 0
	.set _ZN2ck17naive_gemm_kernelINS_13tensor_layout4gemm8RowMajorENS2_11ColumnMajorES3_ddddNS_16tensor_operation12element_wise11PassThroughES7_S7_ddEEvPKT2_PKT3_PT4_iiiT6_T7_T8_.numbered_sgpr, 12
	.set _ZN2ck17naive_gemm_kernelINS_13tensor_layout4gemm8RowMajorENS2_11ColumnMajorES3_ddddNS_16tensor_operation12element_wise11PassThroughES7_S7_ddEEvPKT2_PKT3_PT4_iiiT6_T7_T8_.num_named_barrier, 0
	.set _ZN2ck17naive_gemm_kernelINS_13tensor_layout4gemm8RowMajorENS2_11ColumnMajorES3_ddddNS_16tensor_operation12element_wise11PassThroughES7_S7_ddEEvPKT2_PKT3_PT4_iiiT6_T7_T8_.private_seg_size, 0
	.set _ZN2ck17naive_gemm_kernelINS_13tensor_layout4gemm8RowMajorENS2_11ColumnMajorES3_ddddNS_16tensor_operation12element_wise11PassThroughES7_S7_ddEEvPKT2_PKT3_PT4_iiiT6_T7_T8_.uses_vcc, 1
	.set _ZN2ck17naive_gemm_kernelINS_13tensor_layout4gemm8RowMajorENS2_11ColumnMajorES3_ddddNS_16tensor_operation12element_wise11PassThroughES7_S7_ddEEvPKT2_PKT3_PT4_iiiT6_T7_T8_.uses_flat_scratch, 0
	.set _ZN2ck17naive_gemm_kernelINS_13tensor_layout4gemm8RowMajorENS2_11ColumnMajorES3_ddddNS_16tensor_operation12element_wise11PassThroughES7_S7_ddEEvPKT2_PKT3_PT4_iiiT6_T7_T8_.has_dyn_sized_stack, 0
	.set _ZN2ck17naive_gemm_kernelINS_13tensor_layout4gemm8RowMajorENS2_11ColumnMajorES3_ddddNS_16tensor_operation12element_wise11PassThroughES7_S7_ddEEvPKT2_PKT3_PT4_iiiT6_T7_T8_.has_recursion, 0
	.set _ZN2ck17naive_gemm_kernelINS_13tensor_layout4gemm8RowMajorENS2_11ColumnMajorES3_ddddNS_16tensor_operation12element_wise11PassThroughES7_S7_ddEEvPKT2_PKT3_PT4_iiiT6_T7_T8_.has_indirect_call, 0
	.section	.AMDGPU.csdata,"",@progbits
; Kernel info:
; codeLenInByte = 392
; TotalNumSgprs: 14
; NumVgprs: 12
; ScratchSize: 0
; MemoryBound: 0
; FloatMode: 240
; IeeeMode: 1
; LDSByteSize: 0 bytes/workgroup (compile time only)
; SGPRBlocks: 0
; VGPRBlocks: 1
; NumSGPRsForWavesPerEU: 14
; NumVGPRsForWavesPerEU: 12
; Occupancy: 16
; WaveLimiterHint : 0
; COMPUTE_PGM_RSRC2:SCRATCH_EN: 0
; COMPUTE_PGM_RSRC2:USER_SGPR: 2
; COMPUTE_PGM_RSRC2:TRAP_HANDLER: 0
; COMPUTE_PGM_RSRC2:TGID_X_EN: 1
; COMPUTE_PGM_RSRC2:TGID_Y_EN: 1
; COMPUTE_PGM_RSRC2:TGID_Z_EN: 0
; COMPUTE_PGM_RSRC2:TIDIG_COMP_CNT: 1
	.section	.AMDGPU.gpr_maximums,"",@progbits
	.set amdgpu.max_num_vgpr, 0
	.set amdgpu.max_num_agpr, 0
	.set amdgpu.max_num_sgpr, 0
	.section	.AMDGPU.csdata,"",@progbits
	.protected	_ZN2ck51BlockwiseGemmXdlops_k0mk1_k0nk1_m0n0m1n1m2m3m4n2_v1ILi256EdddKNS_16TensorDescriptorINS_5TupleIJNS_5EmbedINS2_IJNS_17integral_constantIiLi4EEENS4_IiLi128EEENS4_IiLi2EEEEEENS2_IJNS4_IiLi258EEES7_NS4_IiLi1EEEEEELb0EEEEEENS2_IJNS_8SequenceIJLi0EEEEEEENS2_IJNSE_IJLi1ELi2ELi3EEEEEEESH_NS4_IlLl1030EEEEESL_Li16ELi16ELi4ELi2ELi2EddE6MWavesE ; @_ZN2ck51BlockwiseGemmXdlops_k0mk1_k0nk1_m0n0m1n1m2m3m4n2_v1ILi256EdddKNS_16TensorDescriptorINS_5TupleIJNS_5EmbedINS2_IJNS_17integral_constantIiLi4EEENS4_IiLi128EEENS4_IiLi2EEEEEENS2_IJNS4_IiLi258EEES7_NS4_IiLi1EEEEEELb0EEEEEENS2_IJNS_8SequenceIJLi0EEEEEEENS2_IJNSE_IJLi1ELi2ELi3EEEEEEESH_NS4_IlLl1030EEEEESL_Li16ELi16ELi4ELi2ELi2EddE6MWavesE
	.type	_ZN2ck51BlockwiseGemmXdlops_k0mk1_k0nk1_m0n0m1n1m2m3m4n2_v1ILi256EdddKNS_16TensorDescriptorINS_5TupleIJNS_5EmbedINS2_IJNS_17integral_constantIiLi4EEENS4_IiLi128EEENS4_IiLi2EEEEEENS2_IJNS4_IiLi258EEES7_NS4_IiLi1EEEEEELb0EEEEEENS2_IJNS_8SequenceIJLi0EEEEEEENS2_IJNSE_IJLi1ELi2ELi3EEEEEEESH_NS4_IlLl1030EEEEESL_Li16ELi16ELi4ELi2ELi2EddE6MWavesE,@object
	.section	.rodata._ZN2ck51BlockwiseGemmXdlops_k0mk1_k0nk1_m0n0m1n1m2m3m4n2_v1ILi256EdddKNS_16TensorDescriptorINS_5TupleIJNS_5EmbedINS2_IJNS_17integral_constantIiLi4EEENS4_IiLi128EEENS4_IiLi2EEEEEENS2_IJNS4_IiLi258EEES7_NS4_IiLi1EEEEEELb0EEEEEENS2_IJNS_8SequenceIJLi0EEEEEEENS2_IJNSE_IJLi1ELi2ELi3EEEEEEESH_NS4_IlLl1030EEEEESL_Li16ELi16ELi4ELi2ELi2EddE6MWavesE,"aG",@progbits,_ZN2ck51BlockwiseGemmXdlops_k0mk1_k0nk1_m0n0m1n1m2m3m4n2_v1ILi256EdddKNS_16TensorDescriptorINS_5TupleIJNS_5EmbedINS2_IJNS_17integral_constantIiLi4EEENS4_IiLi128EEENS4_IiLi2EEEEEENS2_IJNS4_IiLi258EEES7_NS4_IiLi1EEEEEELb0EEEEEENS2_IJNS_8SequenceIJLi0EEEEEEENS2_IJNSE_IJLi1ELi2ELi3EEEEEEESH_NS4_IlLl1030EEEEESL_Li16ELi16ELi4ELi2ELi2EddE6MWavesE,comdat
	.weak	_ZN2ck51BlockwiseGemmXdlops_k0mk1_k0nk1_m0n0m1n1m2m3m4n2_v1ILi256EdddKNS_16TensorDescriptorINS_5TupleIJNS_5EmbedINS2_IJNS_17integral_constantIiLi4EEENS4_IiLi128EEENS4_IiLi2EEEEEENS2_IJNS4_IiLi258EEES7_NS4_IiLi1EEEEEELb0EEEEEENS2_IJNS_8SequenceIJLi0EEEEEEENS2_IJNSE_IJLi1ELi2ELi3EEEEEEESH_NS4_IlLl1030EEEEESL_Li16ELi16ELi4ELi2ELi2EddE6MWavesE
	.p2align	2, 0x0
_ZN2ck51BlockwiseGemmXdlops_k0mk1_k0nk1_m0n0m1n1m2m3m4n2_v1ILi256EdddKNS_16TensorDescriptorINS_5TupleIJNS_5EmbedINS2_IJNS_17integral_constantIiLi4EEENS4_IiLi128EEENS4_IiLi2EEEEEENS2_IJNS4_IiLi258EEES7_NS4_IiLi1EEEEEELb0EEEEEENS2_IJNS_8SequenceIJLi0EEEEEEENS2_IJNSE_IJLi1ELi2ELi3EEEEEEESH_NS4_IlLl1030EEEEESL_Li16ELi16ELi4ELi2ELi2EddE6MWavesE:
	.long	2                               ; 0x2
	.size	_ZN2ck51BlockwiseGemmXdlops_k0mk1_k0nk1_m0n0m1n1m2m3m4n2_v1ILi256EdddKNS_16TensorDescriptorINS_5TupleIJNS_5EmbedINS2_IJNS_17integral_constantIiLi4EEENS4_IiLi128EEENS4_IiLi2EEEEEENS2_IJNS4_IiLi258EEES7_NS4_IiLi1EEEEEELb0EEEEEENS2_IJNS_8SequenceIJLi0EEEEEEENS2_IJNSE_IJLi1ELi2ELi3EEEEEEESH_NS4_IlLl1030EEEEESL_Li16ELi16ELi4ELi2ELi2EddE6MWavesE, 4

	.protected	_ZN2ck51BlockwiseGemmXdlops_k0mk1_k0nk1_m0n0m1n1m2m3m4n2_v1ILi256EdddKNS_16TensorDescriptorINS_5TupleIJNS_5EmbedINS2_IJNS_17integral_constantIiLi4EEENS4_IiLi128EEENS4_IiLi2EEEEEENS2_IJNS4_IiLi258EEES7_NS4_IiLi1EEEEEELb0EEEEEENS2_IJNS_8SequenceIJLi0EEEEEEENS2_IJNSE_IJLi1ELi2ELi3EEEEEEESH_NS4_IlLl1030EEEEESL_Li16ELi16ELi4ELi2ELi2EddE6NWavesE ; @_ZN2ck51BlockwiseGemmXdlops_k0mk1_k0nk1_m0n0m1n1m2m3m4n2_v1ILi256EdddKNS_16TensorDescriptorINS_5TupleIJNS_5EmbedINS2_IJNS_17integral_constantIiLi4EEENS4_IiLi128EEENS4_IiLi2EEEEEENS2_IJNS4_IiLi258EEES7_NS4_IiLi1EEEEEELb0EEEEEENS2_IJNS_8SequenceIJLi0EEEEEEENS2_IJNSE_IJLi1ELi2ELi3EEEEEEESH_NS4_IlLl1030EEEEESL_Li16ELi16ELi4ELi2ELi2EddE6NWavesE
	.type	_ZN2ck51BlockwiseGemmXdlops_k0mk1_k0nk1_m0n0m1n1m2m3m4n2_v1ILi256EdddKNS_16TensorDescriptorINS_5TupleIJNS_5EmbedINS2_IJNS_17integral_constantIiLi4EEENS4_IiLi128EEENS4_IiLi2EEEEEENS2_IJNS4_IiLi258EEES7_NS4_IiLi1EEEEEELb0EEEEEENS2_IJNS_8SequenceIJLi0EEEEEEENS2_IJNSE_IJLi1ELi2ELi3EEEEEEESH_NS4_IlLl1030EEEEESL_Li16ELi16ELi4ELi2ELi2EddE6NWavesE,@object
	.section	.rodata._ZN2ck51BlockwiseGemmXdlops_k0mk1_k0nk1_m0n0m1n1m2m3m4n2_v1ILi256EdddKNS_16TensorDescriptorINS_5TupleIJNS_5EmbedINS2_IJNS_17integral_constantIiLi4EEENS4_IiLi128EEENS4_IiLi2EEEEEENS2_IJNS4_IiLi258EEES7_NS4_IiLi1EEEEEELb0EEEEEENS2_IJNS_8SequenceIJLi0EEEEEEENS2_IJNSE_IJLi1ELi2ELi3EEEEEEESH_NS4_IlLl1030EEEEESL_Li16ELi16ELi4ELi2ELi2EddE6NWavesE,"aG",@progbits,_ZN2ck51BlockwiseGemmXdlops_k0mk1_k0nk1_m0n0m1n1m2m3m4n2_v1ILi256EdddKNS_16TensorDescriptorINS_5TupleIJNS_5EmbedINS2_IJNS_17integral_constantIiLi4EEENS4_IiLi128EEENS4_IiLi2EEEEEENS2_IJNS4_IiLi258EEES7_NS4_IiLi1EEEEEELb0EEEEEENS2_IJNS_8SequenceIJLi0EEEEEEENS2_IJNSE_IJLi1ELi2ELi3EEEEEEESH_NS4_IlLl1030EEEEESL_Li16ELi16ELi4ELi2ELi2EddE6NWavesE,comdat
	.weak	_ZN2ck51BlockwiseGemmXdlops_k0mk1_k0nk1_m0n0m1n1m2m3m4n2_v1ILi256EdddKNS_16TensorDescriptorINS_5TupleIJNS_5EmbedINS2_IJNS_17integral_constantIiLi4EEENS4_IiLi128EEENS4_IiLi2EEEEEENS2_IJNS4_IiLi258EEES7_NS4_IiLi1EEEEEELb0EEEEEENS2_IJNS_8SequenceIJLi0EEEEEEENS2_IJNSE_IJLi1ELi2ELi3EEEEEEESH_NS4_IlLl1030EEEEESL_Li16ELi16ELi4ELi2ELi2EddE6NWavesE
	.p2align	2, 0x0
_ZN2ck51BlockwiseGemmXdlops_k0mk1_k0nk1_m0n0m1n1m2m3m4n2_v1ILi256EdddKNS_16TensorDescriptorINS_5TupleIJNS_5EmbedINS2_IJNS_17integral_constantIiLi4EEENS4_IiLi128EEENS4_IiLi2EEEEEENS2_IJNS4_IiLi258EEES7_NS4_IiLi1EEEEEELb0EEEEEENS2_IJNS_8SequenceIJLi0EEEEEEENS2_IJNSE_IJLi1ELi2ELi3EEEEEEESH_NS4_IlLl1030EEEEESL_Li16ELi16ELi4ELi2ELi2EddE6NWavesE:
	.long	4                               ; 0x4
	.size	_ZN2ck51BlockwiseGemmXdlops_k0mk1_k0nk1_m0n0m1n1m2m3m4n2_v1ILi256EdddKNS_16TensorDescriptorINS_5TupleIJNS_5EmbedINS2_IJNS_17integral_constantIiLi4EEENS4_IiLi128EEENS4_IiLi2EEEEEENS2_IJNS4_IiLi258EEES7_NS4_IiLi1EEEEEELb0EEEEEENS2_IJNS_8SequenceIJLi0EEEEEEENS2_IJNSE_IJLi1ELi2ELi3EEEEEEESH_NS4_IlLl1030EEEEESL_Li16ELi16ELi4ELi2ELi2EddE6NWavesE, 4

	.type	__hip_cuid_73ab95b2f6a4d453,@object ; @__hip_cuid_73ab95b2f6a4d453
	.section	.bss,"aw",@nobits
	.globl	__hip_cuid_73ab95b2f6a4d453
__hip_cuid_73ab95b2f6a4d453:
	.byte	0                               ; 0x0
	.size	__hip_cuid_73ab95b2f6a4d453, 1

	.ident	"AMD clang version 22.0.0git (https://github.com/RadeonOpenCompute/llvm-project roc-7.2.4 26084 f58b06dce1f9c15707c5f808fd002e18c2accf7e)"
	.section	".note.GNU-stack","",@progbits
	.addrsig
	.addrsig_sym __hip_cuid_73ab95b2f6a4d453
	.amdgpu_metadata
---
amdhsa.kernels:
  - .args:           []
    .group_segment_fixed_size: 0
    .kernarg_segment_align: 4
    .kernarg_segment_size: 0
    .language:       OpenCL C
    .language_version:
      - 2
      - 0
    .max_flat_workgroup_size: 1024
    .name:           _ZN2ckL12flush_icacheEv
    .private_segment_fixed_size: 0
    .sgpr_count:     0
    .sgpr_spill_count: 0
    .symbol:         _ZN2ckL12flush_icacheEv.kd
    .uniform_work_group_size: 1
    .uses_dynamic_stack: false
    .vgpr_count:     0
    .vgpr_spill_count: 0
    .wavefront_size: 32
    .workgroup_processor_mode: 1
  - .args:
      - .offset:         0
        .size:           80
        .value_kind:     by_value
    .group_segment_fixed_size: 0
    .kernarg_segment_align: 8
    .kernarg_segment_size: 80
    .language:       OpenCL C
    .language_version:
      - 2
      - 0
    .max_flat_workgroup_size: 256
    .name:           _ZN2ck23kernel_gemm_xdlops_v2r3INS_43GridwiseGemm_k0mk1_k0nk1_mn_xdlops_v2r3_extILi256EdddLNS_25InMemoryDataOperationEnumE0ENS_13tensor_layout4gemm8RowMajorENS4_11ColumnMajorES5_NS_16tensor_operation12element_wise11PassThroughES9_S9_LNS7_6device18GemmSpecializationE0ELi128ELi128ELi4ELi16ELi16ELi2ELi4ELi4ENS_8SequenceIJLi4ELi64ELi1EEEENSC_IJLi1ELi0ELi2EEEESE_Li2ELi2ELi2ELb0ELb1ESD_SE_SE_Li2ELi2ELi2ELb0ELb1ENSC_IJLi0ELi2ELi4ELi5ELi6ELi1ELi3ELi7EEEELi7ELi1ELi1ELNS_13LoopSchedulerE0ELNS_15PipelineVersionE0EEELb1EEEvNT_8ArgumentE
    .private_segment_fixed_size: 0
    .sgpr_count:     0
    .sgpr_spill_count: 0
    .symbol:         _ZN2ck23kernel_gemm_xdlops_v2r3INS_43GridwiseGemm_k0mk1_k0nk1_mn_xdlops_v2r3_extILi256EdddLNS_25InMemoryDataOperationEnumE0ENS_13tensor_layout4gemm8RowMajorENS4_11ColumnMajorES5_NS_16tensor_operation12element_wise11PassThroughES9_S9_LNS7_6device18GemmSpecializationE0ELi128ELi128ELi4ELi16ELi16ELi2ELi4ELi4ENS_8SequenceIJLi4ELi64ELi1EEEENSC_IJLi1ELi0ELi2EEEESE_Li2ELi2ELi2ELb0ELb1ESD_SE_SE_Li2ELi2ELi2ELb0ELb1ENSC_IJLi0ELi2ELi4ELi5ELi6ELi1ELi3ELi7EEEELi7ELi1ELi1ELNS_13LoopSchedulerE0ELNS_15PipelineVersionE0EEELb1EEEvNT_8ArgumentE.kd
    .uniform_work_group_size: 1
    .uses_dynamic_stack: false
    .vgpr_count:     0
    .vgpr_spill_count: 0
    .wavefront_size: 32
    .workgroup_processor_mode: 1
  - .args:
      - .offset:         0
        .size:           80
        .value_kind:     by_value
    .group_segment_fixed_size: 0
    .kernarg_segment_align: 8
    .kernarg_segment_size: 80
    .language:       OpenCL C
    .language_version:
      - 2
      - 0
    .max_flat_workgroup_size: 256
    .name:           _ZN2ck23kernel_gemm_xdlops_v2r3INS_43GridwiseGemm_k0mk1_k0nk1_mn_xdlops_v2r3_extILi256EdddLNS_25InMemoryDataOperationEnumE0ENS_13tensor_layout4gemm8RowMajorENS4_11ColumnMajorES5_NS_16tensor_operation12element_wise11PassThroughES9_S9_LNS7_6device18GemmSpecializationE0ELi128ELi128ELi4ELi16ELi16ELi2ELi4ELi4ENS_8SequenceIJLi4ELi64ELi1EEEENSC_IJLi1ELi0ELi2EEEESE_Li2ELi2ELi2ELb0ELb1ESD_SE_SE_Li2ELi2ELi2ELb0ELb1ENSC_IJLi0ELi2ELi4ELi5ELi6ELi1ELi3ELi7EEEELi7ELi1ELi1ELNS_13LoopSchedulerE0ELNS_15PipelineVersionE0EEELb0EEEvNT_8ArgumentE
    .private_segment_fixed_size: 0
    .sgpr_count:     0
    .sgpr_spill_count: 0
    .symbol:         _ZN2ck23kernel_gemm_xdlops_v2r3INS_43GridwiseGemm_k0mk1_k0nk1_mn_xdlops_v2r3_extILi256EdddLNS_25InMemoryDataOperationEnumE0ENS_13tensor_layout4gemm8RowMajorENS4_11ColumnMajorES5_NS_16tensor_operation12element_wise11PassThroughES9_S9_LNS7_6device18GemmSpecializationE0ELi128ELi128ELi4ELi16ELi16ELi2ELi4ELi4ENS_8SequenceIJLi4ELi64ELi1EEEENSC_IJLi1ELi0ELi2EEEESE_Li2ELi2ELi2ELb0ELb1ESD_SE_SE_Li2ELi2ELi2ELb0ELb1ENSC_IJLi0ELi2ELi4ELi5ELi6ELi1ELi3ELi7EEEELi7ELi1ELi1ELNS_13LoopSchedulerE0ELNS_15PipelineVersionE0EEELb0EEEvNT_8ArgumentE.kd
    .uniform_work_group_size: 1
    .uses_dynamic_stack: false
    .vgpr_count:     0
    .vgpr_spill_count: 0
    .wavefront_size: 32
    .workgroup_processor_mode: 1
  - .args:
      - .offset:         0
        .size:           80
        .value_kind:     by_value
    .group_segment_fixed_size: 16480
    .kernarg_segment_align: 8
    .kernarg_segment_size: 80
    .language:       OpenCL C
    .language_version:
      - 2
      - 0
    .max_flat_workgroup_size: 256
    .name:           _ZN2ck23kernel_gemm_xdlops_v2r3INS_43GridwiseGemm_k0mk1_k0nk1_mn_xdlops_v2r3_extILi256EdddLNS_25InMemoryDataOperationEnumE0ENS_13tensor_layout4gemm8RowMajorENS4_11ColumnMajorES5_NS_16tensor_operation12element_wise11PassThroughES9_S9_LNS7_6device18GemmSpecializationE0ELi128ELi128ELi4ELi16ELi16ELi2ELi4ELi2ENS_8SequenceIJLi4ELi64ELi1EEEENSC_IJLi1ELi0ELi2EEEESE_Li2ELi2ELi2ELb0ELb1ESD_SE_SE_Li2ELi2ELi2ELb0ELb1ENSC_IJLi0ELi2ELi4ELi5ELi6ELi1ELi3ELi7EEEELi7ELi1ELi1ELNS_13LoopSchedulerE0ELNS_15PipelineVersionE0EEELb1EEEvNT_8ArgumentE
    .private_segment_fixed_size: 0
    .sgpr_count:     29
    .sgpr_spill_count: 0
    .symbol:         _ZN2ck23kernel_gemm_xdlops_v2r3INS_43GridwiseGemm_k0mk1_k0nk1_mn_xdlops_v2r3_extILi256EdddLNS_25InMemoryDataOperationEnumE0ENS_13tensor_layout4gemm8RowMajorENS4_11ColumnMajorES5_NS_16tensor_operation12element_wise11PassThroughES9_S9_LNS7_6device18GemmSpecializationE0ELi128ELi128ELi4ELi16ELi16ELi2ELi4ELi2ENS_8SequenceIJLi4ELi64ELi1EEEENSC_IJLi1ELi0ELi2EEEESE_Li2ELi2ELi2ELb0ELb1ESD_SE_SE_Li2ELi2ELi2ELb0ELb1ENSC_IJLi0ELi2ELi4ELi5ELi6ELi1ELi3ELi7EEEELi7ELi1ELi1ELNS_13LoopSchedulerE0ELNS_15PipelineVersionE0EEELb1EEEvNT_8ArgumentE.kd
    .uniform_work_group_size: 1
    .uses_dynamic_stack: false
    .vgpr_count:     25
    .vgpr_spill_count: 0
    .wavefront_size: 32
    .workgroup_processor_mode: 1
  - .args:
      - .offset:         0
        .size:           80
        .value_kind:     by_value
    .group_segment_fixed_size: 16480
    .kernarg_segment_align: 8
    .kernarg_segment_size: 80
    .language:       OpenCL C
    .language_version:
      - 2
      - 0
    .max_flat_workgroup_size: 256
    .name:           _ZN2ck23kernel_gemm_xdlops_v2r3INS_43GridwiseGemm_k0mk1_k0nk1_mn_xdlops_v2r3_extILi256EdddLNS_25InMemoryDataOperationEnumE0ENS_13tensor_layout4gemm8RowMajorENS4_11ColumnMajorES5_NS_16tensor_operation12element_wise11PassThroughES9_S9_LNS7_6device18GemmSpecializationE0ELi128ELi128ELi4ELi16ELi16ELi2ELi4ELi2ENS_8SequenceIJLi4ELi64ELi1EEEENSC_IJLi1ELi0ELi2EEEESE_Li2ELi2ELi2ELb0ELb1ESD_SE_SE_Li2ELi2ELi2ELb0ELb1ENSC_IJLi0ELi2ELi4ELi5ELi6ELi1ELi3ELi7EEEELi7ELi1ELi1ELNS_13LoopSchedulerE0ELNS_15PipelineVersionE0EEELb0EEEvNT_8ArgumentE
    .private_segment_fixed_size: 0
    .sgpr_count:     32
    .sgpr_spill_count: 0
    .symbol:         _ZN2ck23kernel_gemm_xdlops_v2r3INS_43GridwiseGemm_k0mk1_k0nk1_mn_xdlops_v2r3_extILi256EdddLNS_25InMemoryDataOperationEnumE0ENS_13tensor_layout4gemm8RowMajorENS4_11ColumnMajorES5_NS_16tensor_operation12element_wise11PassThroughES9_S9_LNS7_6device18GemmSpecializationE0ELi128ELi128ELi4ELi16ELi16ELi2ELi4ELi2ENS_8SequenceIJLi4ELi64ELi1EEEENSC_IJLi1ELi0ELi2EEEESE_Li2ELi2ELi2ELb0ELb1ESD_SE_SE_Li2ELi2ELi2ELb0ELb1ENSC_IJLi0ELi2ELi4ELi5ELi6ELi1ELi3ELi7EEEELi7ELi1ELi1ELNS_13LoopSchedulerE0ELNS_15PipelineVersionE0EEELb0EEEvNT_8ArgumentE.kd
    .uniform_work_group_size: 1
    .uses_dynamic_stack: false
    .vgpr_count:     83
    .vgpr_spill_count: 0
    .wavefront_size: 32
    .workgroup_processor_mode: 1
  - .args:
      - .actual_access:  read_only
        .address_space:  global
        .offset:         0
        .size:           8
        .value_kind:     global_buffer
      - .actual_access:  read_only
        .address_space:  global
        .offset:         8
        .size:           8
        .value_kind:     global_buffer
      - .actual_access:  write_only
        .address_space:  global
        .offset:         16
        .size:           8
        .value_kind:     global_buffer
      - .offset:         24
        .size:           4
        .value_kind:     by_value
      - .offset:         28
        .size:           4
        .value_kind:     by_value
      - .offset:         32
        .size:           4
        .value_kind:     by_value
      - .offset:         36
        .size:           1
        .value_kind:     by_value
      - .offset:         37
        .size:           1
        .value_kind:     by_value
      - .offset:         38
        .size:           1
        .value_kind:     by_value
      - .offset:         40
        .size:           4
        .value_kind:     hidden_block_count_x
      - .offset:         44
        .size:           4
        .value_kind:     hidden_block_count_y
      - .offset:         48
        .size:           4
        .value_kind:     hidden_block_count_z
      - .offset:         52
        .size:           2
        .value_kind:     hidden_group_size_x
      - .offset:         54
        .size:           2
        .value_kind:     hidden_group_size_y
      - .offset:         56
        .size:           2
        .value_kind:     hidden_group_size_z
      - .offset:         58
        .size:           2
        .value_kind:     hidden_remainder_x
      - .offset:         60
        .size:           2
        .value_kind:     hidden_remainder_y
      - .offset:         62
        .size:           2
        .value_kind:     hidden_remainder_z
      - .offset:         80
        .size:           8
        .value_kind:     hidden_global_offset_x
      - .offset:         88
        .size:           8
        .value_kind:     hidden_global_offset_y
      - .offset:         96
        .size:           8
        .value_kind:     hidden_global_offset_z
      - .offset:         104
        .size:           2
        .value_kind:     hidden_grid_dims
    .group_segment_fixed_size: 0
    .kernarg_segment_align: 8
    .kernarg_segment_size: 296
    .language:       OpenCL C
    .language_version:
      - 2
      - 0
    .max_flat_workgroup_size: 256
    .name:           _ZN2ck17naive_gemm_kernelINS_13tensor_layout4gemm8RowMajorENS2_11ColumnMajorES3_ddddNS_16tensor_operation12element_wise11PassThroughES7_S7_ddEEvPKT2_PKT3_PT4_iiiT6_T7_T8_
    .private_segment_fixed_size: 0
    .sgpr_count:     14
    .sgpr_spill_count: 0
    .symbol:         _ZN2ck17naive_gemm_kernelINS_13tensor_layout4gemm8RowMajorENS2_11ColumnMajorES3_ddddNS_16tensor_operation12element_wise11PassThroughES7_S7_ddEEvPKT2_PKT3_PT4_iiiT6_T7_T8_.kd
    .uniform_work_group_size: 1
    .uses_dynamic_stack: false
    .vgpr_count:     12
    .vgpr_spill_count: 0
    .wavefront_size: 32
    .workgroup_processor_mode: 1
amdhsa.target:   amdgcn-amd-amdhsa--gfx1201
amdhsa.version:
  - 1
  - 2
...

	.end_amdgpu_metadata
